;; amdgpu-corpus repo=ROCm/rocFFT kind=compiled arch=gfx1030 opt=O3
	.text
	.amdgcn_target "amdgcn-amd-amdhsa--gfx1030"
	.amdhsa_code_object_version 6
	.protected	bluestein_single_back_len1700_dim1_dp_op_CI_CI ; -- Begin function bluestein_single_back_len1700_dim1_dp_op_CI_CI
	.globl	bluestein_single_back_len1700_dim1_dp_op_CI_CI
	.p2align	8
	.type	bluestein_single_back_len1700_dim1_dp_op_CI_CI,@function
bluestein_single_back_len1700_dim1_dp_op_CI_CI: ; @bluestein_single_back_len1700_dim1_dp_op_CI_CI
; %bb.0:
	s_mov_b64 s[62:63], s[2:3]
	s_mov_b64 s[60:61], s[0:1]
	s_load_dwordx4 s[0:3], s[4:5], 0x28
	v_mul_u32_u24_e32 v1, 0x182, v0
	v_mov_b32_e32 v143, 0
	s_add_u32 s60, s60, s7
	s_addc_u32 s61, s61, 0
	v_lshrrev_b32_e32 v1, 16, v1
	v_add_nc_u32_e32 v142, s6, v1
	s_waitcnt lgkmcnt(0)
	v_cmp_gt_u64_e32 vcc_lo, s[0:1], v[142:143]
	s_and_saveexec_b32 s0, vcc_lo
	s_cbranch_execz .LBB0_15
; %bb.1:
	s_clause 0x1
	s_load_dwordx2 s[12:13], s[4:5], 0x0
	s_load_dwordx2 s[14:15], s[4:5], 0x38
	v_mul_lo_u16 v1, 0xaa, v1
	v_sub_nc_u16 v0, v0, v1
	v_and_b32_e32 v1, 0xffff, v0
	v_cmp_gt_u16_e32 vcc_lo, 0x64, v0
	v_lshlrev_b32_e32 v255, 4, v1
	buffer_store_dword v1, off, s[60:63], 0 ; 4-byte Folded Spill
	s_and_saveexec_b32 s1, vcc_lo
	s_cbranch_execz .LBB0_3
; %bb.2:
	s_waitcnt lgkmcnt(0)
	s_clause 0x1
	global_load_dwordx4 v[0:3], v255, s[12:13]
	global_load_dwordx4 v[4:7], v255, s[12:13] offset:1600
	buffer_load_dword v17, off, s[60:63], 0 ; 4-byte Folded Reload
	s_load_dwordx2 s[6:7], s[4:5], 0x18
	v_add_co_u32 v8, s0, s12, v255
	v_add_co_ci_u32_e64 v9, null, s13, 0, s0
	v_add_co_u32 v10, s0, 0x800, v8
	v_add_co_ci_u32_e64 v11, s0, 0, v9, s0
	v_add_co_u32 v14, s0, 0x1000, v8
	v_add_co_ci_u32_e64 v15, s0, 0, v9, s0
	;; [unrolled: 2-line block ×3, first 2 shown]
	v_add_co_u32 v26, s0, 0x2000, v8
	s_waitcnt lgkmcnt(0)
	s_load_dwordx4 s[8:11], s[6:7], 0x0
	v_add_co_ci_u32_e64 v27, s0, 0, v9, s0
	v_add_co_u32 v30, s0, 0x2800, v8
	v_add_co_ci_u32_e64 v31, s0, 0, v9, s0
	v_add_co_u32 v34, s0, 0x3000, v8
	;; [unrolled: 2-line block ×5, first 2 shown]
	s_waitcnt lgkmcnt(0)
	v_mad_u64_u32 v[38:39], null, s10, v142, 0
	v_add_co_ci_u32_e64 v103, s0, 0, v9, s0
	s_mul_i32 s6, s9, 0x640
	s_mul_hi_u32 s7, s8, 0x640
	s_add_i32 s7, s7, s6
	v_mov_b32_e32 v12, v39
	v_mad_u64_u32 v[28:29], null, s11, v142, v[12:13]
	global_load_dwordx4 v[10:13], v[10:11], off offset:1152
	v_mov_b32_e32 v39, v28
	v_lshlrev_b64 v[50:51], 4, v[38:39]
	v_add_co_u32 v50, s0, s2, v50
	v_add_co_ci_u32_e64 v51, s0, s3, v51, s0
	s_mul_i32 s2, s8, 0x640
	s_waitcnt vmcnt(1)
	v_mad_u64_u32 v[46:47], null, s8, v17, 0
	v_mov_b32_e32 v16, v47
	v_mad_u64_u32 v[40:41], null, s9, v17, v[16:17]
	s_clause 0x5
	global_load_dwordx4 v[14:17], v[14:15], off offset:704
	global_load_dwordx4 v[18:21], v[22:23], off offset:256
	;; [unrolled: 1-line block ×6, first 2 shown]
	v_mov_b32_e32 v47, v40
	s_clause 0x1
	global_load_dwordx4 v[38:41], v[42:43], off offset:64
	global_load_dwordx4 v[42:45], v[42:43], off offset:1664
	v_lshlrev_b64 v[46:47], 4, v[46:47]
	v_add_co_u32 v50, s0, v50, v46
	v_add_co_ci_u32_e64 v51, s0, v51, v47, s0
	global_load_dwordx4 v[46:49], v[48:49], off offset:1216
	v_add_co_u32 v54, s0, v50, s2
	v_add_co_ci_u32_e64 v55, s0, s7, v51, s0
	v_add_co_u32 v58, s0, v54, s2
	v_add_co_ci_u32_e64 v59, s0, s7, v55, s0
	s_clause 0x1
	global_load_dwordx4 v[50:53], v[50:51], off
	global_load_dwordx4 v[54:57], v[54:55], off
	v_add_co_u32 v62, s0, v58, s2
	v_add_co_ci_u32_e64 v63, s0, s7, v59, s0
	global_load_dwordx4 v[58:61], v[58:59], off
	v_add_co_u32 v66, s0, v62, s2
	v_add_co_ci_u32_e64 v67, s0, s7, v63, s0
	;; [unrolled: 3-line block ×11, first 2 shown]
	v_add_co_u32 v118, s0, 0x5000, v8
	v_add_co_ci_u32_e64 v119, s0, 0, v9, s0
	v_add_co_u32 v120, s0, v106, s2
	v_add_co_ci_u32_e64 v121, s0, s7, v107, s0
	global_load_dwordx4 v[98:101], v[98:99], off
	global_load_dwordx4 v[102:105], v[102:103], off offset:768
	global_load_dwordx4 v[106:109], v[106:107], off
	global_load_dwordx4 v[110:113], v[118:119], off offset:320
	global_load_dwordx4 v[114:117], v[120:121], off
	v_add_co_u32 v122, s0, v120, s2
	v_add_co_ci_u32_e64 v123, s0, s7, v121, s0
	v_add_co_u32 v126, s0, 0x5800, v8
	v_add_co_ci_u32_e64 v127, s0, 0, v9, s0
	;; [unrolled: 2-line block ×4, first 2 shown]
	global_load_dwordx4 v[118:121], v[118:119], off offset:1920
	global_load_dwordx4 v[122:125], v[122:123], off
	s_clause 0x1
	global_load_dwordx4 v[126:129], v[126:127], off offset:1472
	global_load_dwordx4 v[130:133], v[8:9], off offset:1024
	global_load_dwordx4 v[134:137], v[134:135], off
	s_waitcnt vmcnt(21)
	v_mul_f64 v[8:9], v[52:53], v[2:3]
	v_mul_f64 v[2:3], v[50:51], v[2:3]
	s_waitcnt vmcnt(20)
	v_mul_f64 v[138:139], v[56:57], v[6:7]
	v_mul_f64 v[140:141], v[54:55], v[6:7]
	s_waitcnt vmcnt(19)
	v_mul_f64 v[143:144], v[60:61], v[12:13]
	v_mul_f64 v[12:13], v[58:59], v[12:13]
	s_waitcnt vmcnt(18)
	v_mul_f64 v[145:146], v[64:65], v[16:17]
	v_mul_f64 v[16:17], v[62:63], v[16:17]
	s_waitcnt vmcnt(17)
	v_mul_f64 v[147:148], v[68:69], v[20:21]
	v_mul_f64 v[20:21], v[66:67], v[20:21]
	s_waitcnt vmcnt(16)
	v_mul_f64 v[149:150], v[72:73], v[24:25]
	v_mul_f64 v[24:25], v[70:71], v[24:25]
	v_fma_f64 v[6:7], v[50:51], v[0:1], v[8:9]
	v_fma_f64 v[8:9], v[52:53], v[0:1], -v[2:3]
	v_fma_f64 v[0:1], v[54:55], v[4:5], v[138:139]
	v_fma_f64 v[2:3], v[56:57], v[4:5], -v[140:141]
	s_waitcnt vmcnt(15)
	v_mul_f64 v[4:5], v[76:77], v[28:29]
	v_mul_f64 v[28:29], v[74:75], v[28:29]
	v_fma_f64 v[50:51], v[58:59], v[10:11], v[143:144]
	v_fma_f64 v[52:53], v[60:61], v[10:11], -v[12:13]
	s_waitcnt vmcnt(14)
	v_mul_f64 v[54:55], v[80:81], v[32:33]
	v_mul_f64 v[32:33], v[78:79], v[32:33]
	;; [unrolled: 5-line block ×6, first 2 shown]
	v_fma_f64 v[26:27], v[78:79], v[30:31], v[54:55]
	v_fma_f64 v[28:29], v[80:81], v[30:31], -v[32:33]
	v_fma_f64 v[30:31], v[82:83], v[34:35], v[56:57]
	v_fma_f64 v[32:33], v[84:85], v[34:35], -v[36:37]
	s_waitcnt vmcnt(8)
	v_mul_f64 v[64:65], v[100:101], v[104:105]
	v_mul_f64 v[66:67], v[98:99], v[104:105]
	s_waitcnt vmcnt(6)
	v_mul_f64 v[68:69], v[108:109], v[112:113]
	v_mul_f64 v[70:71], v[106:107], v[112:113]
	v_fma_f64 v[34:35], v[86:87], v[38:39], v[58:59]
	v_fma_f64 v[36:37], v[88:89], v[38:39], -v[40:41]
	v_fma_f64 v[38:39], v[90:91], v[42:43], v[60:61]
	v_fma_f64 v[40:41], v[92:93], v[42:43], -v[44:45]
	;; [unrolled: 2-line block ×3, first 2 shown]
	s_waitcnt vmcnt(4)
	v_mul_f64 v[72:73], v[116:117], v[120:121]
	v_mul_f64 v[104:105], v[114:115], v[120:121]
	s_waitcnt vmcnt(2)
	v_mul_f64 v[112:113], v[124:125], v[128:129]
	v_mul_f64 v[120:121], v[122:123], v[128:129]
	;; [unrolled: 3-line block ×3, first 2 shown]
	v_fma_f64 v[46:47], v[98:99], v[102:103], v[64:65]
	v_fma_f64 v[48:49], v[100:101], v[102:103], -v[66:67]
	v_fma_f64 v[54:55], v[106:107], v[110:111], v[68:69]
	v_fma_f64 v[56:57], v[108:109], v[110:111], -v[70:71]
	;; [unrolled: 2-line block ×5, first 2 shown]
	ds_write_b128 v255, v[6:9]
	ds_write_b128 v255, v[0:3] offset:1600
	ds_write_b128 v255, v[50:53] offset:3200
	;; [unrolled: 1-line block ×16, first 2 shown]
.LBB0_3:
	s_or_b32 exec_lo, exec_lo, s1
	s_load_dwordx2 s[0:1], s[4:5], 0x20
	s_waitcnt lgkmcnt(0)
	s_waitcnt_vscnt null, 0x0
	s_barrier
	buffer_gl0_inv
                                        ; implicit-def: $vgpr32_vgpr33
                                        ; implicit-def: $vgpr48_vgpr49
                                        ; implicit-def: $vgpr52_vgpr53
                                        ; implicit-def: $vgpr60_vgpr61
                                        ; implicit-def: $vgpr64_vgpr65
                                        ; implicit-def: $vgpr68_vgpr69
                                        ; implicit-def: $vgpr72_vgpr73
                                        ; implicit-def: $vgpr76_vgpr77
                                        ; implicit-def: $vgpr80_vgpr81
                                        ; implicit-def: $vgpr84_vgpr85
                                        ; implicit-def: $vgpr88_vgpr89
                                        ; implicit-def: $vgpr92_vgpr93
                                        ; implicit-def: $vgpr56_vgpr57
                                        ; implicit-def: $vgpr44_vgpr45
                                        ; implicit-def: $vgpr40_vgpr41
                                        ; implicit-def: $vgpr36_vgpr37
                                        ; implicit-def: $vgpr28_vgpr29
	s_and_saveexec_b32 s2, vcc_lo
	s_cbranch_execz .LBB0_5
; %bb.4:
	ds_read_b128 v[32:35], v255
	ds_read_b128 v[48:51], v255 offset:1600
	ds_read_b128 v[52:55], v255 offset:3200
	;; [unrolled: 1-line block ×16, first 2 shown]
.LBB0_5:
	s_or_b32 exec_lo, exec_lo, s2
	s_waitcnt lgkmcnt(0)
	v_add_f64 v[122:123], v[50:51], -v[30:31]
	v_add_f64 v[130:131], v[48:49], -v[28:29]
	s_mov_b32 s10, 0x5d8e7cdc
	s_mov_b32 s11, 0xbfd71e95
	v_add_f64 v[96:97], v[54:55], -v[38:39]
	v_add_f64 v[98:99], v[52:53], -v[36:37]
	s_mov_b32 s20, 0x2a9d6da3
	s_mov_b32 s21, 0xbfe58eea
	;; [unrolled: 4-line block ×3, first 2 shown]
	v_add_f64 v[120:121], v[48:49], v[28:29]
	v_add_f64 v[128:129], v[50:51], v[30:31]
	s_mov_b32 s6, 0x370991
	s_mov_b32 s7, 0x3fedd6d0
	v_add_f64 v[102:103], v[52:53], v[36:37]
	v_add_f64 v[106:107], v[54:55], v[38:39]
	s_mov_b32 s8, 0x75d4884
	s_mov_b32 s9, 0x3fe7a5f6
	v_add_f64 v[124:125], v[62:63], v[42:43]
	s_mov_b32 s16, 0x2b2883cd
	v_mul_f64 v[0:1], v[122:123], s[10:11]
	v_mul_f64 v[2:3], v[130:131], s[10:11]
	s_mov_b32 s17, 0x3fdc86fa
	v_add_f64 v[110:111], v[66:67], -v[46:47]
	v_mul_f64 v[4:5], v[96:97], s[20:21]
	v_mul_f64 v[6:7], v[98:99], s[20:21]
	v_add_f64 v[183:184], v[64:65], -v[44:45]
	s_mov_b32 s36, 0xeb564b22
	v_mul_f64 v[8:9], v[100:101], s[22:23]
	v_mul_f64 v[12:13], v[132:133], s[22:23]
	s_mov_b32 s37, 0xbfefdd0d
	v_add_f64 v[138:139], v[66:67], v[46:47]
	s_mov_b32 s18, 0x3259b75e
	s_mov_b32 s19, 0x3fb79ee6
	v_add_f64 v[175:176], v[70:71], -v[58:59]
	s_mov_b32 s26, 0x923c349f
	s_mov_b32 s27, 0xbfeec746
	v_add_f64 v[116:117], v[60:61], v[40:41]
	v_add_f64 v[112:113], v[64:65], v[44:45]
	;; [unrolled: 1-line block ×3, first 2 shown]
	s_mov_b32 s24, 0xc61f0d01
	s_mov_b32 s25, 0xbfd183b1
	buffer_store_dword v0, off, s[60:63], 0 offset:48 ; 4-byte Folded Spill
	buffer_store_dword v1, off, s[60:63], 0 offset:52 ; 4-byte Folded Spill
	;; [unrolled: 1-line block ×12, first 2 shown]
	v_mul_f64 v[10:11], v[110:111], s[36:37]
	buffer_store_dword v10, off, s[60:63], 0 offset:24 ; 4-byte Folded Spill
	buffer_store_dword v11, off, s[60:63], 0 offset:28 ; 4-byte Folded Spill
	v_add_f64 v[227:228], v[68:69], -v[56:57]
	v_add_f64 v[161:162], v[70:71], v[58:59]
	v_add_f64 v[181:182], v[74:75], -v[94:95]
	s_mov_b32 s38, 0x6c9a05f6
	s_mov_b32 s39, 0xbfe9895b
	v_add_f64 v[153:154], v[72:73], v[92:93]
	s_mov_b32 s28, 0x6ed5f1bb
	s_mov_b32 s29, 0xbfe348c8
	v_add_f64 v[245:246], v[72:73], -v[92:93]
	v_add_f64 v[165:166], v[74:75], v[94:95]
	v_add_f64 v[151:152], v[78:79], -v[90:91]
	s_mov_b32 s40, 0x4363dd80
	s_mov_b32 s41, 0xbfe0d888
	v_add_f64 v[147:148], v[76:77], v[88:89]
	s_mov_b32 s30, 0x910ea3b9
	s_mov_b32 s31, 0xbfeb34fa
	;; [unrolled: 8-line block ×3, first 2 shown]
	v_add_f64 v[145:146], v[80:81], -v[84:85]
	v_add_f64 v[177:178], v[82:83], v[86:87]
	v_mul_f64 v[203:204], v[122:123], s[20:21]
	v_mul_f64 v[205:206], v[130:131], s[20:21]
	s_mov_b32 s51, 0x3fe0d888
	s_mov_b32 s50, s40
	;; [unrolled: 1-line block ×8, first 2 shown]
	v_mul_f64 v[223:224], v[122:123], s[22:23]
	v_mul_f64 v[231:232], v[130:131], s[22:23]
	s_mov_b32 s59, 0x3fc7851a
	s_mov_b32 s58, s54
	;; [unrolled: 1-line block ×4, first 2 shown]
	v_mul_f64 v[14:15], v[96:97], s[54:55]
	v_mul_f64 v[16:17], v[98:99], s[54:55]
	;; [unrolled: 1-line block ×4, first 2 shown]
	s_mov_b32 s57, 0x3fe9895b
	s_mov_b32 s56, s38
	v_mul_f64 v[18:19], v[96:97], s[50:51]
	v_mul_f64 v[163:164], v[122:123], s[26:27]
	v_mul_f64 v[167:168], v[130:131], s[26:27]
	v_mul_f64 v[191:192], v[98:99], s[50:51]
	v_mul_f64 v[195:196], v[132:133], s[46:47]
	v_mul_f64 v[193:194], v[110:111], s[22:23]
	v_mul_f64 v[199:200], v[183:184], s[22:23]
	v_mul_f64 v[197:198], v[175:176], s[54:55]
	v_mul_f64 v[201:202], v[227:228], s[54:55]
	s_mov_b32 s45, 0x3fefdd0d
	s_mov_b32 s44, s36
	v_mul_f64 v[171:172], v[122:123], s[38:39]
	v_mul_f64 v[207:208], v[96:97], s[52:53]
	;; [unrolled: 1-line block ×14, first 2 shown]
	v_fma_f64 v[20:21], v[106:107], s[30:31], -v[191:192]
	v_mul_f64 v[233:234], v[173:174], s[42:43]
	v_mul_f64 v[239:240], v[145:146], s[42:43]
	;; [unrolled: 1-line block ×8, first 2 shown]
	v_fma_f64 v[22:23], v[102:103], s[24:25], v[207:208]
	v_mul_f64 v[247:248], v[110:111], s[56:57]
	v_fma_f64 v[24:25], v[106:107], s[24:25], -v[213:214]
	v_mul_f64 v[126:127], v[183:184], s[56:57]
	v_mul_f64 v[136:137], v[227:228], s[10:11]
	;; [unrolled: 1-line block ×4, first 2 shown]
	s_load_dwordx2 s[2:3], s[4:5], 0x8
	v_fma_f64 v[26:27], v[102:103], s[16:17], v[241:242]
	v_fma_f64 v[104:105], v[106:107], s[16:17], -v[249:250]
	v_fma_f64 v[0:1], v[120:121], s[6:7], v[0:1]
	v_fma_f64 v[2:3], v[128:129], s[6:7], -v[2:3]
	;; [unrolled: 2-line block ×3, first 2 shown]
	v_fma_f64 v[8:9], v[116:117], s[16:17], v[8:9]
	v_add_f64 v[0:1], v[32:33], v[0:1]
	v_add_f64 v[2:3], v[34:35], v[2:3]
	;; [unrolled: 1-line block ×3, first 2 shown]
	v_fma_f64 v[4:5], v[124:125], s[16:17], -v[12:13]
	v_add_f64 v[2:3], v[6:7], v[2:3]
	v_fma_f64 v[6:7], v[112:113], s[18:19], v[10:11]
	v_mul_f64 v[10:11], v[96:97], s[38:39]
	v_mul_f64 v[12:13], v[98:99], s[38:39]
	v_add_f64 v[0:1], v[8:9], v[0:1]
	v_mul_f64 v[8:9], v[98:99], s[36:37]
	v_add_f64 v[2:3], v[4:5], v[2:3]
	v_mul_f64 v[4:5], v[183:184], s[36:37]
	buffer_store_dword v4, off, s[60:63], 0 offset:64 ; 4-byte Folded Spill
	buffer_store_dword v5, off, s[60:63], 0 offset:68 ; 4-byte Folded Spill
	v_add_f64 v[0:1], v[6:7], v[0:1]
	v_mul_f64 v[6:7], v[96:97], s[36:37]
	v_fma_f64 v[4:5], v[138:139], s[18:19], -v[4:5]
	v_add_f64 v[2:3], v[4:5], v[2:3]
	v_mul_f64 v[4:5], v[175:176], s[26:27]
	buffer_store_dword v4, off, s[60:63], 0 offset:72 ; 4-byte Folded Spill
	buffer_store_dword v5, off, s[60:63], 0 offset:76 ; 4-byte Folded Spill
	v_fma_f64 v[4:5], v[143:144], s[24:25], v[4:5]
	v_add_f64 v[0:1], v[4:5], v[0:1]
	v_mul_f64 v[4:5], v[227:228], s[26:27]
	buffer_store_dword v4, off, s[60:63], 0 offset:104 ; 4-byte Folded Spill
	buffer_store_dword v5, off, s[60:63], 0 offset:108 ; 4-byte Folded Spill
	v_fma_f64 v[4:5], v[161:162], s[24:25], -v[4:5]
	v_add_f64 v[2:3], v[4:5], v[2:3]
	v_mul_f64 v[4:5], v[181:182], s[38:39]
	buffer_store_dword v4, off, s[60:63], 0 offset:88 ; 4-byte Folded Spill
	buffer_store_dword v5, off, s[60:63], 0 offset:92 ; 4-byte Folded Spill
	v_fma_f64 v[4:5], v[153:154], s[28:29], v[4:5]
	v_add_f64 v[0:1], v[4:5], v[0:1]
	v_mul_f64 v[4:5], v[245:246], s[38:39]
	buffer_store_dword v4, off, s[60:63], 0 offset:112 ; 4-byte Folded Spill
	buffer_store_dword v5, off, s[60:63], 0 offset:116 ; 4-byte Folded Spill
	v_fma_f64 v[4:5], v[165:166], s[28:29], -v[4:5]
	v_add_f64 v[2:3], v[4:5], v[2:3]
	v_mul_f64 v[4:5], v[151:152], s[40:41]
	buffer_store_dword v4, off, s[60:63], 0 offset:80 ; 4-byte Folded Spill
	buffer_store_dword v5, off, s[60:63], 0 offset:84 ; 4-byte Folded Spill
	v_fma_f64 v[4:5], v[147:148], s[30:31], v[4:5]
	v_add_f64 v[0:1], v[4:5], v[0:1]
	v_mul_f64 v[4:5], v[253:254], s[40:41]
	buffer_store_dword v4, off, s[60:63], 0 offset:96 ; 4-byte Folded Spill
	buffer_store_dword v5, off, s[60:63], 0 offset:100 ; 4-byte Folded Spill
	v_fma_f64 v[4:5], v[157:158], s[30:31], -v[4:5]
	v_add_f64 v[2:3], v[4:5], v[2:3]
	v_mul_f64 v[4:5], v[173:174], s[54:55]
	buffer_store_dword v4, off, s[60:63], 0 offset:120 ; 4-byte Folded Spill
	buffer_store_dword v5, off, s[60:63], 0 offset:124 ; 4-byte Folded Spill
	v_fma_f64 v[4:5], v[169:170], s[34:35], v[4:5]
	v_add_f64 v[0:1], v[4:5], v[0:1]
	v_mul_f64 v[4:5], v[145:146], s[54:55]
	buffer_store_dword v4, off, s[60:63], 0 offset:128 ; 4-byte Folded Spill
	buffer_store_dword v5, off, s[60:63], 0 offset:132 ; 4-byte Folded Spill
	buffer_store_dword v6, off, s[60:63], 0 offset:312 ; 4-byte Folded Spill
	buffer_store_dword v7, off, s[60:63], 0 offset:316 ; 4-byte Folded Spill
	;; [unrolled: 1-line block ×4, first 2 shown]
	v_fma_f64 v[4:5], v[177:178], s[34:35], -v[4:5]
	v_fma_f64 v[6:7], v[102:103], s[18:19], v[6:7]
	v_fma_f64 v[8:9], v[106:107], s[18:19], -v[8:9]
	v_add_f64 v[2:3], v[4:5], v[2:3]
	v_fma_f64 v[4:5], v[120:121], s[8:9], v[203:204]
	v_add_f64 v[4:5], v[32:33], v[4:5]
	v_add_f64 v[4:5], v[6:7], v[4:5]
	v_fma_f64 v[6:7], v[128:129], s[8:9], -v[205:206]
	v_add_f64 v[6:7], v[34:35], v[6:7]
	v_add_f64 v[6:7], v[8:9], v[6:7]
	v_mul_f64 v[8:9], v[100:101], s[38:39]
	buffer_store_dword v8, off, s[60:63], 0 offset:304 ; 4-byte Folded Spill
	buffer_store_dword v9, off, s[60:63], 0 offset:308 ; 4-byte Folded Spill
	v_fma_f64 v[8:9], v[116:117], s[28:29], v[8:9]
	v_add_f64 v[4:5], v[8:9], v[4:5]
	v_mul_f64 v[8:9], v[132:133], s[38:39]
	buffer_store_dword v8, off, s[60:63], 0 offset:320 ; 4-byte Folded Spill
	buffer_store_dword v9, off, s[60:63], 0 offset:324 ; 4-byte Folded Spill
	v_fma_f64 v[8:9], v[124:125], s[28:29], -v[8:9]
	v_add_f64 v[6:7], v[8:9], v[6:7]
	v_mul_f64 v[8:9], v[110:111], s[54:55]
	buffer_store_dword v8, off, s[60:63], 0 offset:280 ; 4-byte Folded Spill
	buffer_store_dword v9, off, s[60:63], 0 offset:284 ; 4-byte Folded Spill
	v_fma_f64 v[8:9], v[112:113], s[34:35], v[8:9]
	v_add_f64 v[4:5], v[8:9], v[4:5]
	v_mul_f64 v[8:9], v[183:184], s[54:55]
	buffer_store_dword v8, off, s[60:63], 0 offset:296 ; 4-byte Folded Spill
	buffer_store_dword v9, off, s[60:63], 0 offset:300 ; 4-byte Folded Spill
	v_fma_f64 v[8:9], v[138:139], s[34:35], -v[8:9]
	;; [unrolled: 10-line block ×5, first 2 shown]
	v_add_f64 v[6:7], v[8:9], v[6:7]
	v_mul_f64 v[8:9], v[173:174], s[48:49]
	buffer_store_dword v8, off, s[60:63], 0 offset:136 ; 4-byte Folded Spill
	buffer_store_dword v9, off, s[60:63], 0 offset:140 ; 4-byte Folded Spill
	v_fma_f64 v[8:9], v[169:170], s[6:7], v[8:9]
	v_add_f64 v[4:5], v[8:9], v[4:5]
	v_mul_f64 v[8:9], v[145:146], s[48:49]
	buffer_store_dword v8, off, s[60:63], 0 offset:144 ; 4-byte Folded Spill
	buffer_store_dword v9, off, s[60:63], 0 offset:148 ; 4-byte Folded Spill
	;; [unrolled: 1-line block ×6, first 2 shown]
	v_fma_f64 v[8:9], v[177:178], s[6:7], -v[8:9]
	v_fma_f64 v[10:11], v[102:103], s[28:29], v[10:11]
	v_fma_f64 v[12:13], v[106:107], s[28:29], -v[12:13]
	v_add_f64 v[6:7], v[8:9], v[6:7]
	v_fma_f64 v[8:9], v[120:121], s[16:17], v[223:224]
	v_add_f64 v[8:9], v[32:33], v[8:9]
	v_add_f64 v[8:9], v[10:11], v[8:9]
	v_fma_f64 v[10:11], v[128:129], s[16:17], -v[231:232]
	v_add_f64 v[10:11], v[34:35], v[10:11]
	v_add_f64 v[10:11], v[12:13], v[10:11]
	v_mul_f64 v[12:13], v[100:101], s[58:59]
	buffer_store_dword v12, off, s[60:63], 0 offset:408 ; 4-byte Folded Spill
	buffer_store_dword v13, off, s[60:63], 0 offset:412 ; 4-byte Folded Spill
	v_fma_f64 v[12:13], v[116:117], s[34:35], v[12:13]
	v_add_f64 v[8:9], v[12:13], v[8:9]
	v_mul_f64 v[12:13], v[132:133], s[58:59]
	buffer_store_dword v12, off, s[60:63], 0 offset:432 ; 4-byte Folded Spill
	buffer_store_dword v13, off, s[60:63], 0 offset:436 ; 4-byte Folded Spill
	v_fma_f64 v[12:13], v[124:125], s[34:35], -v[12:13]
	v_add_f64 v[10:11], v[12:13], v[10:11]
	v_mul_f64 v[12:13], v[110:111], s[52:53]
	buffer_store_dword v12, off, s[60:63], 0 offset:384 ; 4-byte Folded Spill
	buffer_store_dword v13, off, s[60:63], 0 offset:388 ; 4-byte Folded Spill
	v_fma_f64 v[12:13], v[112:113], s[24:25], v[12:13]
	v_add_f64 v[8:9], v[12:13], v[8:9]
	v_mul_f64 v[12:13], v[183:184], s[52:53]
	buffer_store_dword v12, off, s[60:63], 0 offset:440 ; 4-byte Folded Spill
	buffer_store_dword v13, off, s[60:63], 0 offset:444 ; 4-byte Folded Spill
	v_fma_f64 v[12:13], v[138:139], s[24:25], -v[12:13]
	;; [unrolled: 10-line block ×5, first 2 shown]
	v_add_f64 v[10:11], v[12:13], v[10:11]
	v_mul_f64 v[12:13], v[173:174], s[40:41]
	buffer_store_dword v12, off, s[60:63], 0 offset:184 ; 4-byte Folded Spill
	buffer_store_dword v13, off, s[60:63], 0 offset:188 ; 4-byte Folded Spill
	v_fma_f64 v[12:13], v[169:170], s[30:31], v[12:13]
	v_add_f64 v[8:9], v[12:13], v[8:9]
	v_mul_f64 v[12:13], v[145:146], s[40:41]
	buffer_store_dword v12, off, s[60:63], 0 offset:192 ; 4-byte Folded Spill
	buffer_store_dword v13, off, s[60:63], 0 offset:196 ; 4-byte Folded Spill
	;; [unrolled: 1-line block ×6, first 2 shown]
	v_fma_f64 v[12:13], v[177:178], s[30:31], -v[12:13]
	v_fma_f64 v[14:15], v[102:103], s[34:35], v[14:15]
	v_fma_f64 v[16:17], v[106:107], s[34:35], -v[16:17]
	v_add_f64 v[10:11], v[12:13], v[10:11]
	v_fma_f64 v[12:13], v[120:121], s[18:19], v[251:252]
	v_add_f64 v[12:13], v[32:33], v[12:13]
	v_add_f64 v[12:13], v[14:15], v[12:13]
	v_fma_f64 v[14:15], v[128:129], s[18:19], -v[114:115]
	v_add_f64 v[14:15], v[34:35], v[14:15]
	v_add_f64 v[14:15], v[16:17], v[14:15]
	v_mul_f64 v[16:17], v[100:101], s[52:53]
	buffer_store_dword v16, off, s[60:63], 0 offset:464 ; 4-byte Folded Spill
	buffer_store_dword v17, off, s[60:63], 0 offset:468 ; 4-byte Folded Spill
	v_fma_f64 v[16:17], v[116:117], s[24:25], v[16:17]
	v_add_f64 v[12:13], v[16:17], v[12:13]
	v_mul_f64 v[16:17], v[132:133], s[52:53]
	buffer_store_dword v16, off, s[60:63], 0 offset:488 ; 4-byte Folded Spill
	buffer_store_dword v17, off, s[60:63], 0 offset:492 ; 4-byte Folded Spill
	v_fma_f64 v[16:17], v[124:125], s[24:25], -v[16:17]
	v_add_f64 v[14:15], v[16:17], v[14:15]
	v_mul_f64 v[16:17], v[110:111], s[48:49]
	buffer_store_dword v16, off, s[60:63], 0 offset:480 ; 4-byte Folded Spill
	buffer_store_dword v17, off, s[60:63], 0 offset:484 ; 4-byte Folded Spill
	v_fma_f64 v[16:17], v[112:113], s[6:7], v[16:17]
	v_add_f64 v[12:13], v[16:17], v[12:13]
	v_mul_f64 v[16:17], v[183:184], s[48:49]
	buffer_store_dword v16, off, s[60:63], 0 offset:504 ; 4-byte Folded Spill
	buffer_store_dword v17, off, s[60:63], 0 offset:508 ; 4-byte Folded Spill
	v_fma_f64 v[16:17], v[138:139], s[6:7], -v[16:17]
	;; [unrolled: 10-line block ×5, first 2 shown]
	v_add_f64 v[14:15], v[16:17], v[14:15]
	v_mul_f64 v[16:17], v[173:174], s[46:47]
	buffer_store_dword v16, off, s[60:63], 0 offset:240 ; 4-byte Folded Spill
	buffer_store_dword v17, off, s[60:63], 0 offset:244 ; 4-byte Folded Spill
	v_fma_f64 v[16:17], v[169:170], s[8:9], v[16:17]
	v_add_f64 v[12:13], v[16:17], v[12:13]
	v_mul_f64 v[16:17], v[145:146], s[46:47]
	buffer_store_dword v16, off, s[60:63], 0 offset:256 ; 4-byte Folded Spill
	buffer_store_dword v17, off, s[60:63], 0 offset:260 ; 4-byte Folded Spill
	;; [unrolled: 1-line block ×4, first 2 shown]
	v_fma_f64 v[16:17], v[177:178], s[8:9], -v[16:17]
	v_fma_f64 v[18:19], v[102:103], s[30:31], v[18:19]
	v_add_f64 v[14:15], v[16:17], v[14:15]
	v_fma_f64 v[16:17], v[120:121], s[24:25], v[163:164]
	v_add_f64 v[16:17], v[32:33], v[16:17]
	v_add_f64 v[16:17], v[18:19], v[16:17]
	v_fma_f64 v[18:19], v[128:129], s[24:25], -v[167:168]
	v_add_f64 v[18:19], v[34:35], v[18:19]
	v_add_f64 v[18:19], v[20:21], v[18:19]
	v_mul_f64 v[20:21], v[100:101], s[46:47]
	buffer_store_dword v20, off, s[60:63], 0 offset:528 ; 4-byte Folded Spill
	buffer_store_dword v21, off, s[60:63], 0 offset:532 ; 4-byte Folded Spill
	v_fma_f64 v[20:21], v[116:117], s[8:9], v[20:21]
	v_add_f64 v[16:17], v[20:21], v[16:17]
	v_fma_f64 v[20:21], v[124:125], s[8:9], -v[195:196]
	v_add_f64 v[18:19], v[20:21], v[18:19]
	v_fma_f64 v[20:21], v[112:113], s[16:17], v[193:194]
	v_add_f64 v[16:17], v[20:21], v[16:17]
	v_fma_f64 v[20:21], v[138:139], s[16:17], -v[199:200]
	v_add_f64 v[18:19], v[20:21], v[18:19]
	;; [unrolled: 4-line block ×3, first 2 shown]
	v_mul_f64 v[20:21], v[181:182], s[44:45]
	buffer_store_dword v20, off, s[60:63], 0 offset:400 ; 4-byte Folded Spill
	buffer_store_dword v21, off, s[60:63], 0 offset:404 ; 4-byte Folded Spill
	v_fma_f64 v[20:21], v[153:154], s[18:19], v[20:21]
	v_add_f64 v[16:17], v[20:21], v[16:17]
	v_mul_f64 v[20:21], v[245:246], s[44:45]
	buffer_store_dword v20, off, s[60:63], 0 offset:416 ; 4-byte Folded Spill
	buffer_store_dword v21, off, s[60:63], 0 offset:420 ; 4-byte Folded Spill
	v_fma_f64 v[20:21], v[165:166], s[18:19], -v[20:21]
	v_add_f64 v[18:19], v[20:21], v[18:19]
	v_mul_f64 v[20:21], v[151:152], s[10:11]
	buffer_store_dword v20, off, s[60:63], 0 offset:368 ; 4-byte Folded Spill
	buffer_store_dword v21, off, s[60:63], 0 offset:372 ; 4-byte Folded Spill
	v_fma_f64 v[20:21], v[147:148], s[6:7], v[20:21]
	v_add_f64 v[16:17], v[20:21], v[16:17]
	v_mul_f64 v[20:21], v[253:254], s[10:11]
	buffer_store_dword v20, off, s[60:63], 0 offset:376 ; 4-byte Folded Spill
	buffer_store_dword v21, off, s[60:63], 0 offset:380 ; 4-byte Folded Spill
	v_fma_f64 v[20:21], v[157:158], s[6:7], -v[20:21]
	v_add_f64 v[18:19], v[20:21], v[18:19]
	v_mul_f64 v[20:21], v[173:174], s[38:39]
	buffer_store_dword v20, off, s[60:63], 0 offset:352 ; 4-byte Folded Spill
	buffer_store_dword v21, off, s[60:63], 0 offset:356 ; 4-byte Folded Spill
	v_fma_f64 v[20:21], v[169:170], s[28:29], v[20:21]
	v_add_f64 v[16:17], v[20:21], v[16:17]
	v_mul_f64 v[20:21], v[145:146], s[38:39]
	buffer_store_dword v20, off, s[60:63], 0 offset:360 ; 4-byte Folded Spill
	buffer_store_dword v21, off, s[60:63], 0 offset:364 ; 4-byte Folded Spill
	s_waitcnt lgkmcnt(0)
	s_waitcnt_vscnt null, 0x0
	s_barrier
	buffer_gl0_inv
	v_fma_f64 v[20:21], v[177:178], s[28:29], -v[20:21]
	v_add_f64 v[18:19], v[20:21], v[18:19]
	v_fma_f64 v[20:21], v[120:121], s[28:29], v[171:172]
	v_add_f64 v[20:21], v[32:33], v[20:21]
	v_add_f64 v[20:21], v[22:23], v[20:21]
	v_fma_f64 v[22:23], v[128:129], s[28:29], -v[179:180]
	v_add_f64 v[22:23], v[34:35], v[22:23]
	v_add_f64 v[22:23], v[24:25], v[22:23]
	v_fma_f64 v[24:25], v[116:117], s[6:7], v[209:210]
	v_add_f64 v[20:21], v[24:25], v[20:21]
	v_fma_f64 v[24:25], v[124:125], s[6:7], -v[217:218]
	v_add_f64 v[22:23], v[24:25], v[22:23]
	v_fma_f64 v[24:25], v[112:113], s[30:31], v[211:212]
	v_add_f64 v[20:21], v[24:25], v[20:21]
	v_fma_f64 v[24:25], v[138:139], s[30:31], -v[221:222]
	;; [unrolled: 4-line block ×6, first 2 shown]
	v_add_f64 v[22:23], v[24:25], v[22:23]
	v_fma_f64 v[24:25], v[120:121], s[30:31], v[185:186]
	v_add_f64 v[24:25], v[32:33], v[24:25]
	v_add_f64 v[24:25], v[26:27], v[24:25]
	v_fma_f64 v[26:27], v[128:129], s[30:31], -v[187:188]
	v_add_f64 v[26:27], v[34:35], v[26:27]
	v_add_f64 v[26:27], v[104:105], v[26:27]
	v_fma_f64 v[104:105], v[116:117], s[18:19], v[243:244]
	v_add_f64 v[24:25], v[104:105], v[24:25]
	v_fma_f64 v[104:105], v[124:125], s[18:19], -v[108:109]
	v_add_f64 v[26:27], v[104:105], v[26:27]
	v_fma_f64 v[104:105], v[112:113], s[28:29], v[247:248]
	v_add_f64 v[24:25], v[104:105], v[24:25]
	v_fma_f64 v[104:105], v[138:139], s[28:29], -v[126:127]
	v_add_f64 v[26:27], v[104:105], v[26:27]
	v_mul_f64 v[104:105], v[175:176], s[10:11]
	v_fma_f64 v[118:119], v[143:144], s[6:7], v[104:105]
	v_add_f64 v[24:25], v[118:119], v[24:25]
	v_fma_f64 v[118:119], v[161:162], s[6:7], -v[136:137]
	v_add_f64 v[26:27], v[118:119], v[26:27]
	v_mul_f64 v[118:119], v[181:182], s[54:55]
	;; [unrolled: 5-line block ×4, first 2 shown]
	v_fma_f64 v[159:160], v[169:170], s[24:25], v[140:141]
	v_add_f64 v[24:25], v[159:160], v[24:25]
	v_mul_f64 v[159:160], v[145:146], s[26:27]
	v_fma_f64 v[189:190], v[177:178], s[24:25], -v[159:160]
	v_add_f64 v[26:27], v[189:190], v[26:27]
	buffer_load_dword v189, off, s[60:63], 0 ; 4-byte Folded Reload
	s_waitcnt vmcnt(0)
	v_mul_lo_u16 v189, v189, 17
	buffer_store_dword v189, off, s[60:63], 0 offset:4 ; 4-byte Folded Spill
	s_and_saveexec_b32 s4, vcc_lo
	s_cbranch_execz .LBB0_7
; %bb.6:
	v_add_f64 v[48:49], v[32:33], v[48:49]
	v_add_f64 v[50:51], v[34:35], v[50:51]
	v_mul_f64 v[189:190], v[153:154], s[8:9]
	v_mul_f64 v[96:97], v[96:97], s[48:49]
	;; [unrolled: 1-line block ×3, first 2 shown]
	v_add_f64 v[48:49], v[48:49], v[52:53]
	v_add_f64 v[50:51], v[50:51], v[54:55]
	v_mul_f64 v[54:55], v[120:121], s[28:29]
	v_add_f64 v[189:190], v[189:190], -v[219:220]
	v_mul_f64 v[219:220], v[124:125], s[24:25]
	v_add_f64 v[48:49], v[48:49], v[60:61]
	v_add_f64 v[50:51], v[50:51], v[62:63]
	v_mul_f64 v[62:63], v[120:121], s[18:19]
	v_add_f64 v[54:55], v[54:55], -v[171:172]
	v_mul_f64 v[60:61], v[128:129], s[18:19]
	v_add_f64 v[48:49], v[48:49], v[64:65]
	v_add_f64 v[50:51], v[50:51], v[66:67]
	v_mul_f64 v[66:67], v[120:121], s[16:17]
	v_add_f64 v[62:63], v[62:63], -v[251:252]
	v_add_f64 v[54:55], v[32:33], v[54:55]
	v_add_f64 v[60:61], v[114:115], v[60:61]
	v_mul_f64 v[64:65], v[128:129], s[16:17]
	v_mul_f64 v[251:252], v[116:117], s[28:29]
	v_add_f64 v[48:49], v[48:49], v[68:69]
	v_add_f64 v[50:51], v[50:51], v[70:71]
	v_mul_f64 v[70:71], v[120:121], s[8:9]
	v_add_f64 v[66:67], v[66:67], -v[223:224]
	v_add_f64 v[62:63], v[32:33], v[62:63]
	v_mul_f64 v[68:69], v[128:129], s[8:9]
	v_mul_f64 v[223:224], v[143:144], s[16:17]
	v_add_f64 v[64:65], v[231:232], v[64:65]
	v_mul_f64 v[231:232], v[106:107], s[28:29]
	v_add_f64 v[60:61], v[34:35], v[60:61]
	v_add_f64 v[48:49], v[48:49], v[72:73]
	;; [unrolled: 1-line block ×3, first 2 shown]
	s_clause 0x1
	buffer_load_dword v74, off, s[60:63], 0 offset:56
	buffer_load_dword v75, off, s[60:63], 0 offset:60
	v_mul_f64 v[72:73], v[128:129], s[6:7]
	v_add_f64 v[70:71], v[70:71], -v[203:204]
	v_add_f64 v[66:67], v[32:33], v[66:67]
	v_add_f64 v[68:69], v[205:206], v[68:69]
	v_mul_f64 v[205:206], v[112:113], s[30:31]
	v_mul_f64 v[203:204], v[143:144], s[18:19]
	v_add_f64 v[64:65], v[34:35], v[64:65]
	v_add_f64 v[48:49], v[48:49], v[76:77]
	;; [unrolled: 1-line block ×3, first 2 shown]
	v_mul_f64 v[78:79], v[120:121], s[6:7]
	v_add_f64 v[70:71], v[32:33], v[70:71]
	v_add_f64 v[68:69], v[34:35], v[68:69]
	v_add_f64 v[205:206], v[205:206], -v[211:212]
	v_mul_f64 v[211:212], v[116:117], s[6:7]
	v_add_f64 v[203:204], v[203:204], -v[215:216]
	v_mul_f64 v[215:216], v[161:162], s[16:17]
	v_add_f64 v[48:49], v[48:49], v[80:81]
	s_clause 0x1
	buffer_load_dword v80, off, s[60:63], 0 offset:48
	buffer_load_dword v81, off, s[60:63], 0 offset:52
	v_add_f64 v[50:51], v[50:51], v[82:83]
	v_add_f64 v[209:210], v[211:212], -v[209:210]
	v_mul_f64 v[211:212], v[102:103], s[24:25]
	v_add_f64 v[48:49], v[48:49], v[84:85]
	v_add_f64 v[50:51], v[50:51], v[86:87]
	v_add_f64 v[207:208], v[211:212], -v[207:208]
	v_mul_f64 v[211:212], v[161:162], s[34:35]
	v_add_f64 v[48:49], v[48:49], v[88:89]
	v_add_f64 v[50:51], v[50:51], v[90:91]
	;; [unrolled: 1-line block ×4, first 2 shown]
	v_mul_f64 v[211:212], v[138:139], s[16:17]
	v_add_f64 v[52:53], v[48:49], v[92:93]
	v_add_f64 v[50:51], v[50:51], v[94:95]
	;; [unrolled: 1-line block ×4, first 2 shown]
	v_mul_f64 v[211:212], v[124:125], s[8:9]
	v_add_f64 v[48:49], v[50:51], v[58:59]
	v_add_f64 v[50:51], v[52:53], v[56:57]
	v_mul_f64 v[58:59], v[120:121], s[24:25]
	v_mul_f64 v[56:57], v[128:129], s[24:25]
	;; [unrolled: 1-line block ×3, first 2 shown]
	v_add_f64 v[54:55], v[205:206], v[54:55]
	v_add_f64 v[195:196], v[195:196], v[211:212]
	v_mul_f64 v[211:212], v[106:107], s[30:31]
	v_add_f64 v[46:47], v[48:49], v[46:47]
	v_add_f64 v[44:45], v[50:51], v[44:45]
	v_mul_f64 v[50:51], v[120:121], s[30:31]
	v_add_f64 v[58:59], v[58:59], -v[163:164]
	v_mul_f64 v[48:49], v[128:129], s[30:31]
	v_add_f64 v[56:57], v[167:168], v[56:57]
	v_add_f64 v[52:53], v[179:180], v[52:53]
	;; [unrolled: 1-line block ×4, first 2 shown]
	v_mul_f64 v[211:212], v[143:144], s[34:35]
	v_add_f64 v[42:43], v[46:47], v[42:43]
	v_add_f64 v[40:41], v[44:45], v[40:41]
	v_add_f64 v[50:51], v[50:51], -v[185:186]
	v_add_f64 v[58:59], v[32:33], v[58:59]
	v_add_f64 v[48:49], v[187:188], v[48:49]
	v_mul_f64 v[44:45], v[128:129], s[34:35]
	v_add_f64 v[52:53], v[34:35], v[52:53]
	v_add_f64 v[56:57], v[34:35], v[56:57]
	;; [unrolled: 1-line block ×3, first 2 shown]
	v_add_f64 v[197:198], v[211:212], -v[197:198]
	v_mul_f64 v[211:212], v[112:113], s[16:17]
	v_add_f64 v[86:87], v[32:33], v[50:51]
	v_mul_f64 v[50:51], v[147:148], s[34:35]
	v_add_f64 v[84:85], v[34:35], v[48:49]
	v_mul_f64 v[48:49], v[157:158], s[34:35]
	v_fma_f64 v[46:47], v[130:131], s[58:59], v[44:45]
	v_fma_f64 v[44:45], v[130:131], s[54:55], v[44:45]
	v_add_f64 v[56:57], v[191:192], v[56:57]
	v_add_f64 v[193:194], v[211:212], -v[193:194]
	v_mul_f64 v[211:212], v[116:117], s[8:9]
	v_add_f64 v[50:51], v[50:51], -v[225:226]
	v_mul_f64 v[225:226], v[102:103], s[34:35]
	v_add_f64 v[167:168], v[237:238], v[48:49]
	v_mul_f64 v[48:49], v[165:166], s[8:9]
	v_mul_f64 v[237:238], v[161:162], s[8:9]
	v_add_f64 v[82:83], v[34:35], v[44:45]
	v_mul_f64 v[44:45], v[147:148], s[8:9]
	v_add_f64 v[56:57], v[195:196], v[56:57]
	v_add_f64 v[171:172], v[235:236], v[48:49]
	v_mul_f64 v[48:49], v[161:162], s[18:19]
	v_mul_f64 v[235:236], v[138:139], s[24:25]
	v_add_f64 v[44:45], v[44:45], -v[134:135]
	v_add_f64 v[56:57], v[199:200], v[56:57]
	v_add_f64 v[179:180], v[229:230], v[48:49]
	v_mul_f64 v[48:49], v[138:139], s[30:31]
	v_mul_f64 v[229:230], v[112:113], s[6:7]
	v_add_f64 v[56:57], v[201:202], v[56:57]
	s_waitcnt vmcnt(2)
	v_add_f64 v[72:73], v[74:75], v[72:73]
	v_mul_f64 v[74:75], v[122:123], s[54:55]
	v_add_f64 v[72:73], v[34:35], v[72:73]
	v_fma_f64 v[76:77], v[120:121], s[34:35], v[74:75]
	v_fma_f64 v[74:75], v[120:121], s[34:35], -v[74:75]
	s_waitcnt vmcnt(0)
	v_add_f64 v[78:79], v[78:79], -v[80:81]
	v_add_f64 v[80:81], v[34:35], v[46:47]
	v_add_f64 v[76:77], v[32:33], v[76:77]
	;; [unrolled: 1-line block ×3, first 2 shown]
	v_mul_f64 v[46:47], v[153:154], s[34:35]
	v_add_f64 v[78:79], v[32:33], v[78:79]
	v_add_f64 v[32:33], v[42:43], v[38:39]
	v_mul_f64 v[38:39], v[177:178], s[18:19]
	buffer_store_dword v32, off, s[60:63], 0 offset:48 ; 4-byte Folded Spill
	buffer_store_dword v33, off, s[60:63], 0 offset:52 ; 4-byte Folded Spill
	v_add_f64 v[32:33], v[40:41], v[36:37]
	v_mul_f64 v[40:41], v[157:158], s[24:25]
	v_add_f64 v[118:119], v[46:47], -v[118:119]
	v_mul_f64 v[46:47], v[143:144], s[6:7]
	buffer_store_dword v32, off, s[60:63], 0 offset:56 ; 4-byte Folded Spill
	buffer_store_dword v33, off, s[60:63], 0 offset:60 ; 4-byte Folded Spill
	v_fma_f64 v[32:33], v[145:146], s[36:37], v[38:39]
	v_fma_f64 v[88:89], v[253:254], s[52:53], v[40:41]
	;; [unrolled: 1-line block ×3, first 2 shown]
	v_mul_f64 v[40:41], v[165:166], s[16:17]
	v_fma_f64 v[38:39], v[145:146], s[44:45], v[38:39]
	v_add_f64 v[104:105], v[46:47], -v[104:105]
	v_mul_f64 v[46:47], v[112:113], s[28:29]
	v_fma_f64 v[253:254], v[116:117], s[30:31], v[100:101]
	v_fma_f64 v[100:101], v[116:117], s[30:31], -v[100:101]
	buffer_store_dword v32, off, s[60:63], 0 offset:536 ; 4-byte Folded Spill
	buffer_store_dword v33, off, s[60:63], 0 offset:540 ; 4-byte Folded Spill
	s_clause 0x1
	buffer_load_dword v32, off, s[60:63], 0 offset:528
	buffer_load_dword v33, off, s[60:63], 0 offset:532
	v_fma_f64 v[92:93], v[245:246], s[22:23], v[40:41]
	v_fma_f64 v[94:95], v[245:246], s[42:43], v[40:41]
	v_mul_f64 v[40:41], v[161:162], s[28:29]
	v_add_f64 v[134:135], v[46:47], -v[247:248]
	v_mul_f64 v[46:47], v[116:117], s[18:19]
	v_mul_f64 v[245:246], v[116:117], s[34:35]
	v_fma_f64 v[247:248], v[102:103], s[6:7], v[96:97]
	v_fma_f64 v[96:97], v[102:103], s[6:7], -v[96:97]
	v_fma_f64 v[114:115], v[227:228], s[56:57], v[40:41]
	v_fma_f64 v[120:121], v[227:228], s[38:39], v[40:41]
	v_mul_f64 v[40:41], v[138:139], s[8:9]
	v_mul_f64 v[227:228], v[116:117], s[24:25]
	;; [unrolled: 1-line block ×3, first 2 shown]
	v_add_f64 v[74:75], v[96:97], v[74:75]
	v_mul_f64 v[96:97], v[138:139], s[18:19]
	v_add_f64 v[76:77], v[247:248], v[76:77]
	v_fma_f64 v[122:123], v[183:184], s[20:21], v[40:41]
	v_fma_f64 v[128:129], v[183:184], s[46:47], v[40:41]
	v_add_f64 v[183:184], v[221:222], v[48:49]
	v_mul_f64 v[48:49], v[124:125], s[6:7]
	v_mul_f64 v[221:222], v[106:107], s[34:35]
	;; [unrolled: 1-line block ×3, first 2 shown]
	v_add_f64 v[74:75], v[100:101], v[74:75]
	v_add_f64 v[76:77], v[253:254], v[76:77]
	;; [unrolled: 1-line block ×3, first 2 shown]
	v_mul_f64 v[48:49], v[106:107], s[24:25]
	v_mul_f64 v[217:218], v[138:139], s[6:7]
	v_fma_f64 v[130:131], v[132:133], s[50:51], v[40:41]
	v_fma_f64 v[132:133], v[132:133], s[40:41], v[40:41]
	v_mul_f64 v[40:41], v[106:107], s[6:7]
	v_add_f64 v[187:188], v[213:214], v[48:49]
	v_mul_f64 v[213:214], v[102:103], s[30:31]
	v_mul_f64 v[48:49], v[169:170], s[16:17]
	v_fma_f64 v[145:146], v[98:99], s[10:11], v[40:41]
	v_fma_f64 v[98:99], v[98:99], s[48:49], v[40:41]
	v_mul_f64 v[40:41], v[177:178], s[24:25]
	v_add_f64 v[52:53], v[187:188], v[52:53]
	v_add_f64 v[48:49], v[48:49], -v[233:234]
	v_mul_f64 v[233:234], v[124:125], s[34:35]
	v_add_f64 v[80:81], v[145:146], v[80:81]
	v_add_f64 v[82:83], v[98:99], v[82:83]
	;; [unrolled: 1-line block ×3, first 2 shown]
	v_mul_f64 v[40:41], v[157:158], s[8:9]
	v_mul_f64 v[145:146], v[112:113], s[34:35]
	v_add_f64 v[52:53], v[185:186], v[52:53]
	v_add_f64 v[80:81], v[130:131], v[80:81]
	;; [unrolled: 1-line block ×4, first 2 shown]
	v_mul_f64 v[40:41], v[165:166], s[34:35]
	v_add_f64 v[52:53], v[183:184], v[52:53]
	v_add_f64 v[80:81], v[122:123], v[80:81]
	;; [unrolled: 1-line block ×4, first 2 shown]
	v_mul_f64 v[40:41], v[161:162], s[6:7]
	v_add_f64 v[52:53], v[179:180], v[52:53]
	v_add_f64 v[80:81], v[114:115], v[80:81]
	;; [unrolled: 1-line block ×3, first 2 shown]
	v_mul_f64 v[120:121], v[169:170], s[34:35]
	v_add_f64 v[136:137], v[136:137], v[40:41]
	v_mul_f64 v[40:41], v[138:139], s[28:29]
	v_add_f64 v[52:53], v[171:172], v[52:53]
	v_add_f64 v[80:81], v[92:93], v[80:81]
	v_mul_f64 v[92:93], v[181:182], s[42:43]
	v_add_f64 v[82:83], v[94:95], v[82:83]
	;; [unrolled: 3-line block ×5, first 2 shown]
	v_mul_f64 v[40:41], v[169:170], s[24:25]
	v_mul_f64 v[249:250], v[124:125], s[28:29]
	;; [unrolled: 1-line block ×3, first 2 shown]
	v_add_f64 v[84:85], v[159:160], v[84:85]
	v_add_f64 v[40:41], v[40:41], -v[140:141]
	v_add_f64 v[140:141], v[46:47], -v[243:244]
	v_mul_f64 v[46:47], v[102:103], s[16:17]
	v_mul_f64 v[243:244], v[102:103], s[18:19]
	v_add_f64 v[84:85], v[108:109], v[84:85]
	v_add_f64 v[163:164], v[46:47], -v[241:242]
	v_mul_f64 v[46:47], v[177:178], s[16:17]
	v_mul_f64 v[241:242], v[106:107], s[18:19]
	;; [unrolled: 1-line block ×3, first 2 shown]
	s_waitcnt vmcnt(0)
	v_add_f64 v[211:212], v[211:212], -v[32:33]
	s_clause 0x1
	buffer_load_dword v32, off, s[60:63], 0 offset:520
	buffer_load_dword v33, off, s[60:63], 0 offset:524
	v_add_f64 v[84:85], v[126:127], v[84:85]
	v_add_f64 v[86:87], v[163:164], v[86:87]
	;; [unrolled: 1-line block ×3, first 2 shown]
	v_mul_f64 v[239:240], v[102:103], s[28:29]
	v_mul_f64 v[102:103], v[102:103], s[8:9]
	v_add_f64 v[84:85], v[136:137], v[84:85]
	v_add_f64 v[86:87], v[140:141], v[86:87]
	;; [unrolled: 1-line block ×9, first 2 shown]
	s_waitcnt vmcnt(0)
	v_add_f64 v[213:214], v[213:214], -v[32:33]
	s_clause 0x1
	buffer_load_dword v32, off, s[60:63], 0 offset:512
	buffer_load_dword v33, off, s[60:63], 0 offset:516
	v_add_f64 v[58:59], v[213:214], v[58:59]
	v_add_f64 v[58:59], v[211:212], v[58:59]
	;; [unrolled: 1-line block ×4, first 2 shown]
	s_waitcnt vmcnt(0)
	v_add_f64 v[215:216], v[32:33], v[215:216]
	s_clause 0x1
	buffer_load_dword v32, off, s[60:63], 0 offset:504
	buffer_load_dword v33, off, s[60:63], 0 offset:508
	s_waitcnt vmcnt(0)
	v_add_f64 v[217:218], v[32:33], v[217:218]
	s_clause 0x1
	buffer_load_dword v32, off, s[60:63], 0 offset:488
	buffer_load_dword v33, off, s[60:63], 0 offset:492
	;; [unrolled: 5-line block ×4, first 2 shown]
	v_add_f64 v[60:61], v[221:222], v[60:61]
	v_add_f64 v[60:61], v[219:220], v[60:61]
	;; [unrolled: 1-line block ×4, first 2 shown]
	s_waitcnt vmcnt(0)
	v_add_f64 v[223:224], v[223:224], -v[32:33]
	s_clause 0x1
	buffer_load_dword v32, off, s[60:63], 0 offset:456
	buffer_load_dword v33, off, s[60:63], 0 offset:460
	s_waitcnt vmcnt(0)
	v_add_f64 v[225:226], v[225:226], -v[32:33]
	s_clause 0x1
	buffer_load_dword v32, off, s[60:63], 0 offset:464
	buffer_load_dword v33, off, s[60:63], 0 offset:468
	v_add_f64 v[62:63], v[225:226], v[62:63]
	s_waitcnt vmcnt(0)
	v_add_f64 v[227:228], v[227:228], -v[32:33]
	s_clause 0x1
	buffer_load_dword v32, off, s[60:63], 0 offset:480
	buffer_load_dword v33, off, s[60:63], 0 offset:484
	v_add_f64 v[62:63], v[227:228], v[62:63]
	;; [unrolled: 6-line block ×3, first 2 shown]
	v_add_f64 v[62:63], v[223:224], v[62:63]
	s_waitcnt vmcnt(0)
	v_add_f64 v[231:232], v[32:33], v[231:232]
	s_clause 0x1
	buffer_load_dword v32, off, s[60:63], 0 offset:432
	buffer_load_dword v33, off, s[60:63], 0 offset:436
	v_add_f64 v[64:65], v[231:232], v[64:65]
	s_waitcnt vmcnt(0)
	v_add_f64 v[233:234], v[32:33], v[233:234]
	s_clause 0x1
	buffer_load_dword v32, off, s[60:63], 0 offset:440
	buffer_load_dword v33, off, s[60:63], 0 offset:444
	;; [unrolled: 6-line block ×4, first 2 shown]
	v_add_f64 v[64:65], v[237:238], v[64:65]
	s_waitcnt vmcnt(0)
	v_add_f64 v[239:240], v[239:240], -v[32:33]
	s_clause 0x1
	buffer_load_dword v32, off, s[60:63], 0 offset:336
	buffer_load_dword v33, off, s[60:63], 0 offset:340
	v_add_f64 v[66:67], v[239:240], v[66:67]
	s_waitcnt vmcnt(0)
	v_add_f64 v[241:242], v[32:33], v[241:242]
	s_clause 0x1
	buffer_load_dword v32, off, s[60:63], 0 offset:312
	buffer_load_dword v33, off, s[60:63], 0 offset:316
	v_add_f64 v[68:69], v[241:242], v[68:69]
	s_waitcnt vmcnt(0)
	v_add_f64 v[243:244], v[243:244], -v[32:33]
	s_clause 0x1
	buffer_load_dword v32, off, s[60:63], 0 offset:16
	buffer_load_dword v33, off, s[60:63], 0 offset:20
	v_add_f64 v[70:71], v[243:244], v[70:71]
	s_waitcnt vmcnt(0)
	v_add_f64 v[106:107], v[32:33], v[106:107]
	s_clause 0x1
	buffer_load_dword v32, off, s[60:63], 0 offset:408
	buffer_load_dword v33, off, s[60:63], 0 offset:412
	v_add_f64 v[72:73], v[106:107], v[72:73]
	s_waitcnt vmcnt(0)
	v_add_f64 v[245:246], v[245:246], -v[32:33]
	s_clause 0x1
	buffer_load_dword v32, off, s[60:63], 0 offset:8
	buffer_load_dword v33, off, s[60:63], 0 offset:12
	v_add_f64 v[66:67], v[245:246], v[66:67]
	s_waitcnt vmcnt(0)
	v_add_f64 v[102:103], v[102:103], -v[32:33]
	s_clause 0x1
	buffer_load_dword v32, off, s[60:63], 0 offset:320
	buffer_load_dword v33, off, s[60:63], 0 offset:324
	v_add_f64 v[78:79], v[102:103], v[78:79]
	v_mul_f64 v[102:103], v[165:166], s[6:7]
	s_waitcnt vmcnt(0)
	v_add_f64 v[249:250], v[32:33], v[249:250]
	s_clause 0x1
	buffer_load_dword v32, off, s[60:63], 0 offset:304
	buffer_load_dword v33, off, s[60:63], 0 offset:308
	v_add_f64 v[68:69], v[249:250], v[68:69]
	s_waitcnt vmcnt(0)
	v_add_f64 v[251:252], v[251:252], -v[32:33]
	s_clause 0x1
	buffer_load_dword v32, off, s[60:63], 0 offset:40
	buffer_load_dword v33, off, s[60:63], 0 offset:44
	v_add_f64 v[70:71], v[251:252], v[70:71]
	s_waitcnt vmcnt(0)
	v_add_f64 v[124:125], v[32:33], v[124:125]
	s_clause 0x5
	buffer_load_dword v32, off, s[60:63], 0 offset:32
	buffer_load_dword v33, off, s[60:63], 0 offset:36
	;; [unrolled: 1-line block ×6, first 2 shown]
	v_add_f64 v[72:73], v[124:125], v[72:73]
	s_waitcnt vmcnt(4)
	v_add_f64 v[116:117], v[116:117], -v[32:33]
	v_mul_f64 v[32:33], v[112:113], s[24:25]
	v_add_f64 v[78:79], v[116:117], v[78:79]
	s_waitcnt vmcnt(2)
	v_add_f64 v[32:33], v[32:33], -v[34:35]
	v_mul_f64 v[34:35], v[138:139], s[34:35]
	v_mul_f64 v[116:117], v[147:148], s[30:31]
	v_add_f64 v[32:33], v[32:33], v[66:67]
	s_waitcnt vmcnt(0)
	v_add_f64 v[34:35], v[36:37], v[34:35]
	s_clause 0x5
	buffer_load_dword v36, off, s[60:63], 0 offset:280
	buffer_load_dword v37, off, s[60:63], 0 offset:284
	;; [unrolled: 1-line block ×6, first 2 shown]
	v_mul_f64 v[66:67], v[161:162], s[30:31]
	v_add_f64 v[34:35], v[34:35], v[68:69]
	v_mul_f64 v[68:69], v[143:144], s[30:31]
	s_waitcnt vmcnt(4)
	v_add_f64 v[145:146], v[145:146], -v[36:37]
	s_waitcnt vmcnt(2)
	v_add_f64 v[96:97], v[98:99], v[96:97]
	v_mul_f64 v[98:99], v[110:111], s[46:47]
	s_waitcnt vmcnt(0)
	v_add_f64 v[88:89], v[88:89], -v[90:91]
	v_mul_f64 v[90:91], v[143:144], s[8:9]
	v_add_f64 v[70:71], v[145:146], v[70:71]
	v_add_f64 v[72:73], v[96:97], v[72:73]
	v_fma_f64 v[100:101], v[112:113], s[8:9], v[98:99]
	v_fma_f64 v[98:99], v[112:113], s[8:9], -v[98:99]
	v_add_f64 v[78:79], v[88:89], v[78:79]
	v_mul_f64 v[88:89], v[165:166], s[18:19]
	v_add_f64 v[76:77], v[100:101], v[76:77]
	v_add_f64 v[74:75], v[98:99], v[74:75]
	v_mul_f64 v[98:99], v[175:176], s[38:39]
	v_fma_f64 v[100:101], v[143:144], s[28:29], v[98:99]
	v_fma_f64 v[98:99], v[143:144], s[28:29], -v[98:99]
	v_add_f64 v[76:77], v[100:101], v[76:77]
	v_add_f64 v[74:75], v[98:99], v[74:75]
	v_fma_f64 v[98:99], v[153:154], s[16:17], v[92:93]
	v_fma_f64 v[92:93], v[153:154], s[16:17], -v[92:93]
	v_mul_f64 v[100:101], v[153:154], s[30:31]
	v_add_f64 v[76:77], v[98:99], v[76:77]
	v_add_f64 v[74:75], v[92:93], v[74:75]
	s_clause 0x1
	buffer_load_dword v92, off, s[60:63], 0 offset:264
	buffer_load_dword v93, off, s[60:63], 0 offset:268
	v_mul_f64 v[98:99], v[165:166], s[30:31]
	s_waitcnt vmcnt(0)
	v_add_f64 v[90:91], v[90:91], -v[92:93]
	s_clause 0x1
	buffer_load_dword v92, off, s[60:63], 0 offset:208
	buffer_load_dword v93, off, s[60:63], 0 offset:212
	v_add_f64 v[32:33], v[90:91], v[32:33]
	v_mul_f64 v[90:91], v[157:158], s[28:29]
	s_waitcnt vmcnt(0)
	v_add_f64 v[66:67], v[92:93], v[66:67]
	s_clause 0x7
	buffer_load_dword v92, off, s[60:63], 0 offset:200
	buffer_load_dword v93, off, s[60:63], 0 offset:204
	;; [unrolled: 1-line block ×8, first 2 shown]
	v_add_f64 v[34:35], v[66:67], v[34:35]
	v_mul_f64 v[66:67], v[153:154], s[24:25]
	s_waitcnt vmcnt(6)
	v_add_f64 v[68:69], v[68:69], -v[92:93]
	v_mul_f64 v[92:93], v[161:162], s[24:25]
	s_waitcnt vmcnt(0)
	v_add_f64 v[88:89], v[36:37], v[88:89]
	s_clause 0x1
	buffer_load_dword v36, off, s[60:63], 0 offset:400
	buffer_load_dword v37, off, s[60:63], 0 offset:404
	v_add_f64 v[68:69], v[68:69], v[70:71]
	v_add_f64 v[92:93], v[94:95], v[92:93]
	v_mul_f64 v[94:95], v[143:144], s[24:25]
	v_mul_f64 v[70:71], v[157:158], s[6:7]
	v_add_f64 v[56:57], v[88:89], v[56:57]
	v_mul_f64 v[88:89], v[147:148], s[6:7]
	v_add_f64 v[72:73], v[92:93], v[72:73]
	v_add_f64 v[94:95], v[94:95], -v[96:97]
	v_mul_f64 v[96:97], v[153:154], s[18:19]
	v_mul_f64 v[92:93], v[153:154], s[28:29]
	v_add_f64 v[78:79], v[94:95], v[78:79]
	v_mul_f64 v[94:95], v[147:148], s[28:29]
	s_waitcnt vmcnt(0)
	v_add_f64 v[96:97], v[96:97], -v[36:37]
	s_clause 0x1
	buffer_load_dword v36, off, s[60:63], 0 offset:344
	buffer_load_dword v37, off, s[60:63], 0 offset:348
	v_add_f64 v[58:59], v[96:97], v[58:59]
	s_waitcnt vmcnt(0)
	v_add_f64 v[98:99], v[36:37], v[98:99]
	s_clause 0x7
	buffer_load_dword v36, off, s[60:63], 0 offset:328
	buffer_load_dword v37, off, s[60:63], 0 offset:332
	;; [unrolled: 1-line block ×8, first 2 shown]
	v_add_f64 v[60:61], v[98:99], v[60:61]
	s_waitcnt vmcnt(6)
	v_add_f64 v[100:101], v[100:101], -v[36:37]
	s_waitcnt vmcnt(4)
	v_add_f64 v[102:103], v[104:105], v[102:103]
	v_mul_f64 v[104:105], v[153:154], s[6:7]
	v_add_f64 v[62:63], v[100:101], v[62:63]
	v_add_f64 v[64:65], v[102:103], v[64:65]
	s_waitcnt vmcnt(2)
	v_add_f64 v[104:105], v[104:105], -v[106:107]
	v_mul_f64 v[106:107], v[165:166], s[24:25]
	v_mul_f64 v[102:103], v[147:148], s[18:19]
	v_add_f64 v[32:33], v[104:105], v[32:33]
	s_waitcnt vmcnt(0)
	v_add_f64 v[106:107], v[108:109], v[106:107]
	s_clause 0x3
	buffer_load_dword v108, off, s[60:63], 0 offset:168
	buffer_load_dword v109, off, s[60:63], 0 offset:172
	;; [unrolled: 1-line block ×4, first 2 shown]
	v_add_f64 v[34:35], v[106:107], v[34:35]
	v_mul_f64 v[106:107], v[147:148], s[16:17]
	s_waitcnt vmcnt(2)
	v_add_f64 v[66:67], v[66:67], -v[108:109]
	v_mul_f64 v[108:109], v[165:166], s[28:29]
	v_add_f64 v[66:67], v[66:67], v[68:69]
	s_waitcnt vmcnt(0)
	v_add_f64 v[108:109], v[110:111], v[108:109]
	s_clause 0x3
	buffer_load_dword v110, off, s[60:63], 0 offset:88
	buffer_load_dword v111, off, s[60:63], 0 offset:92
	;; [unrolled: 1-line block ×4, first 2 shown]
	v_mul_f64 v[68:69], v[177:178], s[28:29]
	v_add_f64 v[72:73], v[108:109], v[72:73]
	v_mul_f64 v[108:109], v[151:152], s[26:27]
	s_waitcnt vmcnt(2)
	v_add_f64 v[92:93], v[92:93], -v[110:111]
	s_waitcnt vmcnt(0)
	v_add_f64 v[70:71], v[36:37], v[70:71]
	s_clause 0x1
	buffer_load_dword v36, off, s[60:63], 0 offset:368
	buffer_load_dword v37, off, s[60:63], 0 offset:372
	v_add_f64 v[78:79], v[92:93], v[78:79]
	v_add_f64 v[56:57], v[70:71], v[56:57]
	v_mul_f64 v[70:71], v[169:170], s[28:29]
	s_waitcnt vmcnt(0)
	v_add_f64 v[88:89], v[88:89], -v[36:37]
	s_clause 0x5
	buffer_load_dword v36, off, s[60:63], 0 offset:288
	buffer_load_dword v37, off, s[60:63], 0 offset:292
	;; [unrolled: 1-line block ×6, first 2 shown]
	v_add_f64 v[88:89], v[88:89], v[58:59]
	s_waitcnt vmcnt(4)
	v_add_f64 v[90:91], v[36:37], v[90:91]
	s_waitcnt vmcnt(2)
	v_add_f64 v[94:95], v[94:95], -v[98:99]
	v_mul_f64 v[98:99], v[157:158], s[18:19]
	v_add_f64 v[60:61], v[90:91], v[60:61]
	v_mul_f64 v[90:91], v[169:170], s[8:9]
	s_waitcnt vmcnt(0)
	v_add_f64 v[98:99], v[110:111], v[98:99]
	s_clause 0x3
	buffer_load_dword v110, off, s[60:63], 0 offset:216
	buffer_load_dword v111, off, s[60:63], 0 offset:220
	;; [unrolled: 1-line block ×4, first 2 shown]
	v_add_f64 v[94:95], v[94:95], v[62:63]
	v_add_f64 v[64:65], v[98:99], v[64:65]
	v_mul_f64 v[98:99], v[169:170], s[30:31]
	s_waitcnt vmcnt(2)
	v_add_f64 v[102:103], v[102:103], -v[110:111]
	v_mul_f64 v[110:111], v[157:158], s[16:17]
	v_add_f64 v[32:33], v[102:103], v[32:33]
	s_waitcnt vmcnt(0)
	v_add_f64 v[110:111], v[112:113], v[110:111]
	s_clause 0x7
	buffer_load_dword v112, off, s[60:63], 0 offset:152
	buffer_load_dword v113, off, s[60:63], 0 offset:156
	;; [unrolled: 1-line block ×8, first 2 shown]
	v_add_f64 v[102:103], v[50:51], v[54:55]
	v_add_f64 v[54:55], v[46:47], v[52:53]
	;; [unrolled: 1-line block ×6, first 2 shown]
	s_waitcnt vmcnt(6)
	v_add_f64 v[106:107], v[106:107], -v[112:113]
	v_mul_f64 v[112:113], v[157:158], s[30:31]
	s_waitcnt vmcnt(2)
	v_add_f64 v[116:117], v[116:117], -v[118:119]
	s_waitcnt vmcnt(0)
	v_add_f64 v[68:69], v[36:37], v[68:69]
	s_clause 0x3
	buffer_load_dword v36, off, s[60:63], 0 offset:352
	buffer_load_dword v37, off, s[60:63], 0 offset:356
	;; [unrolled: 1-line block ×4, first 2 shown]
	v_add_f64 v[106:107], v[106:107], v[66:67]
	v_add_f64 v[112:113], v[114:115], v[112:113]
	v_fma_f64 v[114:115], v[147:148], s[24:25], v[108:109]
	v_fma_f64 v[108:109], v[147:148], s[24:25], -v[108:109]
	v_add_f64 v[78:79], v[116:117], v[78:79]
	v_add_f64 v[58:59], v[68:69], v[56:57]
	;; [unrolled: 1-line block ×3, first 2 shown]
	v_mul_f64 v[112:113], v[173:174], s[44:45]
	v_add_f64 v[108:109], v[108:109], v[74:75]
	v_add_f64 v[76:77], v[114:115], v[76:77]
	s_waitcnt vmcnt(2)
	v_add_f64 v[92:93], v[70:71], -v[36:37]
	v_mul_f64 v[70:71], v[177:178], s[8:9]
	v_add_f64 v[56:57], v[92:93], v[88:89]
	s_waitcnt vmcnt(0)
	v_add_f64 v[70:71], v[96:97], v[70:71]
	s_clause 0x3
	buffer_load_dword v96, off, s[60:63], 0 offset:240
	buffer_load_dword v97, off, s[60:63], 0 offset:244
	;; [unrolled: 1-line block ×4, first 2 shown]
	v_add_f64 v[62:63], v[70:71], v[60:61]
	s_waitcnt vmcnt(2)
	v_add_f64 v[90:91], v[90:91], -v[96:97]
	v_mul_f64 v[96:97], v[177:178], s[30:31]
	v_add_f64 v[60:61], v[90:91], v[94:95]
	s_waitcnt vmcnt(0)
	v_add_f64 v[96:97], v[100:101], v[96:97]
	s_clause 0xb
	buffer_load_dword v100, off, s[60:63], 0 offset:184
	buffer_load_dword v101, off, s[60:63], 0 offset:188
	;; [unrolled: 1-line block ×12, first 2 shown]
	v_add_f64 v[66:67], v[96:97], v[64:65]
	s_waitcnt vmcnt(10)
	v_add_f64 v[98:99], v[98:99], -v[100:101]
	v_mul_f64 v[100:101], v[177:178], s[6:7]
	s_waitcnt vmcnt(2)
	v_add_f64 v[120:121], v[120:121], -v[122:123]
	s_waitcnt vmcnt(0)
	v_add_f64 v[36:37], v[36:37], v[80:81]
	v_add_f64 v[64:65], v[98:99], v[32:33]
	;; [unrolled: 1-line block ×3, first 2 shown]
	v_mul_f64 v[104:105], v[169:170], s[6:7]
	v_mov_b32_e32 v32, 4
	v_add_f64 v[70:71], v[100:101], v[34:35]
	s_clause 0x1
	buffer_load_dword v34, off, s[60:63], 0 offset:48
	buffer_load_dword v35, off, s[60:63], 0 offset:52
	v_add_f64 v[104:105], v[104:105], -v[110:111]
	v_mul_f64 v[110:111], v[177:178], s[34:35]
	v_add_f64 v[68:69], v[104:105], v[106:107]
	v_add_f64 v[110:111], v[118:119], v[110:111]
	v_fma_f64 v[118:119], v[169:170], s[18:19], v[112:113]
	v_fma_f64 v[112:113], v[169:170], s[18:19], -v[112:113]
	v_add_f64 v[74:75], v[110:111], v[72:73]
	v_add_f64 v[72:73], v[120:121], v[78:79]
	;; [unrolled: 1-line block ×3, first 2 shown]
	s_waitcnt vmcnt(0)
	v_add_f64 v[30:31], v[34:35], v[30:31]
	s_clause 0x2
	buffer_load_dword v34, off, s[60:63], 0 offset:56
	buffer_load_dword v35, off, s[60:63], 0 offset:60
	;; [unrolled: 1-line block ×3, first 2 shown]
	s_waitcnt vmcnt(1)
	v_add_f64 v[28:29], v[34:35], v[28:29]
	v_add_f64 v[34:35], v[118:119], v[76:77]
	s_waitcnt vmcnt(0)
	v_lshlrev_b32_sdwa v32, v32, v33 dst_sel:DWORD dst_unused:UNUSED_PAD src0_sel:DWORD src1_sel:WORD_0
	ds_write_b128 v32, v[28:31]
	ds_write_b128 v32, v[72:75] offset:16
	ds_write_b128 v32, v[68:71] offset:32
	ds_write_b128 v32, v[64:67] offset:48
	ds_write_b128 v32, v[60:63] offset:64
	ds_write_b128 v32, v[56:59] offset:80
	ds_write_b128 v32, v[52:55] offset:96
	ds_write_b128 v32, v[48:51] offset:112
	ds_write_b128 v32, v[42:45] offset:128
	ds_write_b128 v32, v[34:37] offset:144
	ds_write_b128 v32, v[24:27] offset:160
	ds_write_b128 v32, v[20:23] offset:176
	ds_write_b128 v32, v[16:19] offset:192
	ds_write_b128 v32, v[12:15] offset:208
	ds_write_b128 v32, v[8:11] offset:224
	ds_write_b128 v32, v[4:7] offset:240
	ds_write_b128 v32, v[0:3] offset:256
.LBB0_7:
	s_or_b32 exec_lo, exec_lo, s4
	buffer_load_dword v179, off, s[60:63], 0 ; 4-byte Folded Reload
	s_load_dwordx4 s[4:7], s[0:1], 0x0
	s_waitcnt vmcnt(0) lgkmcnt(0)
	s_waitcnt_vscnt null, 0x0
	s_barrier
	buffer_gl0_inv
	s_mov_b32 s8, 0x134454ff
	s_mov_b32 s9, 0x3fee6f0e
	;; [unrolled: 1-line block ×12, first 2 shown]
	v_and_b32_e32 v28, 0xff, v179
	v_mul_lo_u16 v28, 0xf1, v28
	v_lshrrev_b16 v65, 12, v28
	v_mul_lo_u16 v28, v65, 17
	v_sub_nc_u16 v28, v179, v28
	v_and_b32_e32 v64, 0xff, v28
	v_mad_u64_u32 v[48:49], null, 0x90, v64, s[2:3]
	s_clause 0x8
	global_load_dwordx4 v[32:35], v[48:49], off offset:32
	global_load_dwordx4 v[40:43], v[48:49], off offset:64
	;; [unrolled: 1-line block ×4, first 2 shown]
	global_load_dwordx4 v[28:31], v[48:49], off
	global_load_dwordx4 v[60:63], v[48:49], off offset:16
	global_load_dwordx4 v[56:59], v[48:49], off offset:48
	;; [unrolled: 1-line block ×4, first 2 shown]
	ds_read_b128 v[66:69], v255 offset:8160
	ds_read_b128 v[70:73], v255 offset:13600
	;; [unrolled: 1-line block ×9, first 2 shown]
	s_waitcnt vmcnt(8) lgkmcnt(8)
	v_mul_f64 v[102:103], v[68:69], v[34:35]
	s_waitcnt vmcnt(7) lgkmcnt(7)
	v_mul_f64 v[106:107], v[72:73], v[42:43]
	v_mul_f64 v[108:109], v[70:71], v[42:43]
	s_waitcnt vmcnt(6) lgkmcnt(6)
	v_mul_f64 v[110:111], v[76:77], v[38:39]
	v_mul_f64 v[112:113], v[74:75], v[38:39]
	s_waitcnt vmcnt(5) lgkmcnt(5)
	v_mul_f64 v[116:117], v[80:81], v[46:47]
	v_mul_f64 v[104:105], v[66:67], v[34:35]
	v_mul_f64 v[114:115], v[78:79], v[46:47]
	s_waitcnt vmcnt(4) lgkmcnt(4)
	v_mul_f64 v[118:119], v[84:85], v[30:31]
	v_mul_f64 v[120:121], v[82:83], v[30:31]
	s_waitcnt vmcnt(3) lgkmcnt(3)
	v_mul_f64 v[122:123], v[88:89], v[62:63]
	v_mul_f64 v[124:125], v[86:87], v[62:63]
	s_waitcnt vmcnt(2) lgkmcnt(2)
	v_mul_f64 v[126:127], v[92:93], v[58:59]
	v_mul_f64 v[128:129], v[90:91], v[58:59]
	s_waitcnt vmcnt(1) lgkmcnt(1)
	v_mul_f64 v[130:131], v[96:97], v[54:55]
	v_mul_f64 v[132:133], v[94:95], v[54:55]
	s_waitcnt vmcnt(0) lgkmcnt(0)
	v_mul_f64 v[134:135], v[98:99], v[50:51]
	v_fma_f64 v[102:103], v[66:67], v[32:33], -v[102:103]
	v_fma_f64 v[70:71], v[70:71], v[40:41], -v[106:107]
	v_fma_f64 v[72:73], v[72:73], v[40:41], v[108:109]
	v_fma_f64 v[74:75], v[74:75], v[36:37], -v[110:111]
	v_fma_f64 v[76:77], v[76:77], v[36:37], v[112:113]
	v_fma_f64 v[78:79], v[78:79], v[44:45], -v[116:117]
	v_fma_f64 v[104:105], v[68:69], v[32:33], v[104:105]
	v_fma_f64 v[80:81], v[80:81], v[44:45], v[114:115]
	v_mul_f64 v[106:107], v[100:101], v[50:51]
	v_fma_f64 v[82:83], v[82:83], v[28:29], -v[118:119]
	v_fma_f64 v[84:85], v[84:85], v[28:29], v[120:121]
	v_fma_f64 v[86:87], v[86:87], v[60:61], -v[122:123]
	v_fma_f64 v[88:89], v[88:89], v[60:61], v[124:125]
	;; [unrolled: 2-line block ×4, first 2 shown]
	v_fma_f64 v[100:101], v[100:101], v[48:49], v[134:135]
	ds_read_b128 v[66:69], v255
	s_waitcnt lgkmcnt(0)
	s_barrier
	buffer_gl0_inv
	v_add_f64 v[149:150], v[102:103], -v[70:71]
	v_add_f64 v[153:154], v[70:71], -v[102:103]
	v_add_f64 v[108:109], v[70:71], v[74:75]
	v_add_f64 v[110:111], v[72:73], v[76:77]
	;; [unrolled: 1-line block ×3, first 2 shown]
	v_add_f64 v[124:125], v[72:73], -v[76:77]
	v_add_f64 v[112:113], v[104:105], v[80:81]
	v_fma_f64 v[98:99], v[98:99], v[48:49], -v[106:107]
	v_add_f64 v[122:123], v[104:105], -v[80:81]
	v_add_f64 v[126:127], v[102:103], -v[78:79]
	;; [unrolled: 1-line block ×6, first 2 shown]
	v_add_f64 v[116:117], v[90:91], v[94:95]
	v_add_f64 v[143:144], v[92:93], v[96:97]
	;; [unrolled: 1-line block ×3, first 2 shown]
	v_add_f64 v[159:160], v[80:81], -v[76:77]
	v_add_f64 v[161:162], v[72:73], -v[104:105]
	v_add_f64 v[163:164], v[76:77], -v[80:81]
	v_add_f64 v[106:107], v[66:67], v[86:87]
	v_add_f64 v[140:141], v[68:69], v[88:89]
	v_add_f64 v[118:119], v[88:89], -v[100:101]
	v_add_f64 v[130:131], v[86:87], -v[90:91]
	v_fma_f64 v[108:109], v[108:109], -0.5, v[82:83]
	v_fma_f64 v[110:111], v[110:111], -0.5, v[84:85]
	;; [unrolled: 1-line block ×3, first 2 shown]
	v_add_f64 v[82:83], v[82:83], v[102:103]
	v_fma_f64 v[112:113], v[112:113], -0.5, v[84:85]
	v_add_f64 v[134:135], v[86:87], v[98:99]
	v_add_f64 v[84:85], v[84:85], v[104:105]
	v_add_f64 v[132:133], v[98:99], -v[94:95]
	v_add_f64 v[136:137], v[90:91], -v[86:87]
	;; [unrolled: 1-line block ×5, first 2 shown]
	v_fma_f64 v[102:103], v[116:117], -0.5, v[66:67]
	v_fma_f64 v[104:105], v[143:144], -0.5, v[68:69]
	;; [unrolled: 1-line block ×3, first 2 shown]
	v_add_f64 v[116:117], v[149:150], v[151:152]
	v_add_f64 v[143:144], v[157:158], v[159:160]
	;; [unrolled: 1-line block ×3, first 2 shown]
	v_add_f64 v[138:139], v[94:95], -v[98:99]
	v_add_f64 v[173:174], v[88:89], -v[92:93]
	;; [unrolled: 1-line block ×3, first 2 shown]
	v_add_f64 v[90:91], v[106:107], v[90:91]
	v_fma_f64 v[171:172], v[122:123], s[18:19], v[108:109]
	v_fma_f64 v[165:166], v[126:127], s[18:19], v[110:111]
	;; [unrolled: 1-line block ×8, first 2 shown]
	v_fma_f64 v[66:67], v[134:135], -0.5, v[66:67]
	v_add_f64 v[134:135], v[153:154], v[155:156]
	v_add_f64 v[92:93], v[140:141], v[92:93]
	v_add_f64 v[70:71], v[82:83], v[70:71]
	v_add_f64 v[72:73], v[84:85], v[72:73]
	v_add_f64 v[175:176], v[100:101], -v[96:97]
	v_add_f64 v[106:107], v[130:131], v[132:133]
	v_fma_f64 v[82:83], v[118:119], s[8:9], v[102:103]
	v_fma_f64 v[84:85], v[118:119], s[18:19], v[102:103]
	v_add_f64 v[177:178], v[96:97], -v[100:101]
	v_add_f64 v[90:91], v[90:91], v[94:95]
	v_fma_f64 v[155:156], v[124:125], s[20:21], v[171:172]
	v_fma_f64 v[149:150], v[128:129], s[20:21], v[165:166]
	;; [unrolled: 1-line block ×13, first 2 shown]
	v_add_f64 v[122:123], v[136:137], v[138:139]
	v_fma_f64 v[66:67], v[120:121], s[8:9], v[66:67]
	v_add_f64 v[92:93], v[92:93], v[96:97]
	v_add_f64 v[70:71], v[70:71], v[74:75]
	v_add_f64 v[72:73], v[72:73], v[76:77]
	v_fma_f64 v[74:75], v[120:121], s[10:11], v[82:83]
	v_fma_f64 v[76:77], v[120:121], s[20:21], v[84:85]
	v_add_f64 v[88:89], v[88:89], v[177:178]
	v_add_f64 v[90:91], v[90:91], v[98:99]
	v_fma_f64 v[136:137], v[116:117], s[16:17], v[155:156]
	v_fma_f64 v[128:129], v[143:144], s[16:17], v[149:150]
	;; [unrolled: 1-line block ×8, first 2 shown]
	v_add_f64 v[116:117], v[173:174], v[175:176]
	v_fma_f64 v[84:85], v[145:146], s[20:21], v[124:125]
	v_fma_f64 v[94:95], v[145:146], s[10:11], v[104:105]
	;; [unrolled: 1-line block ×6, first 2 shown]
	v_add_f64 v[92:93], v[92:93], v[100:101]
	v_add_f64 v[70:71], v[70:71], v[78:79]
	;; [unrolled: 1-line block ×3, first 2 shown]
	v_fma_f64 v[98:99], v[106:107], s[16:17], v[74:75]
	v_fma_f64 v[100:101], v[106:107], s[16:17], v[76:77]
	v_mad_u64_u32 v[138:139], null, 0x90, v179, s[2:3]
	v_mul_f64 v[118:119], v[136:137], s[22:23]
	v_mul_f64 v[86:87], v[128:129], s[10:11]
	;; [unrolled: 1-line block ×8, first 2 shown]
	v_fma_f64 v[140:141], v[116:117], s[16:17], v[84:85]
	v_fma_f64 v[116:117], v[116:117], s[16:17], v[94:95]
	v_fma_f64 v[95:96], v[88:89], s[16:17], v[96:97]
	v_fma_f64 v[143:144], v[88:89], s[16:17], v[68:69]
	v_fma_f64 v[106:107], v[122:123], s[16:17], v[82:83]
	v_fma_f64 v[122:123], v[122:123], s[16:17], v[66:67]
	v_mov_b32_e32 v66, 0xaa
	v_add_f64 v[67:68], v[92:93], v[72:73]
	v_fma_f64 v[110:111], v[110:111], s[10:11], -v[118:119]
	v_fma_f64 v[108:109], v[108:109], s[22:23], v[86:87]
	v_fma_f64 v[104:105], v[112:113], s[8:9], -v[104:105]
	v_fma_f64 v[112:113], v[128:129], s[22:23], v[120:121]
	v_fma_f64 v[102:103], v[114:115], s[16:17], v[102:103]
	;; [unrolled: 1-line block ×3, first 2 shown]
	v_fma_f64 v[118:119], v[132:133], s[18:19], -v[126:127]
	v_fma_f64 v[120:121], v[136:137], s[20:21], -v[134:135]
	v_mul_u32_u24_sdwa v126, v65, v66 dst_sel:DWORD dst_unused:UNUSED_PAD src0_sel:WORD_0 src1_sel:DWORD
	v_add_f64 v[65:66], v[90:91], v[70:71]
	v_add_f64 v[69:70], v[90:91], -v[70:71]
	v_add_f64 v[71:72], v[92:93], -v[72:73]
	v_add_co_u32 v124, s0, 0x990, v138
	v_add_co_ci_u32_e64 v125, s0, 0, v139, s0
	v_add_lshl_u32 v185, v126, v64, 4
	v_add_f64 v[85:86], v[100:101], v[110:111]
	v_add_f64 v[73:74], v[98:99], v[108:109]
	;; [unrolled: 1-line block ×8, first 2 shown]
	v_add_f64 v[89:90], v[98:99], -v[108:109]
	v_add_f64 v[91:92], v[140:141], -v[112:113]
	v_add_f64 v[93:94], v[106:107], -v[102:103]
	v_add_f64 v[95:96], v[95:96], -v[114:115]
	v_add_f64 v[97:98], v[122:123], -v[104:105]
	v_add_f64 v[101:102], v[100:101], -v[110:111]
	v_add_f64 v[99:100], v[143:144], -v[118:119]
	v_add_f64 v[103:104], v[116:117], -v[120:121]
	v_add_co_u32 v105, s0, 0x800, v138
	v_add_co_ci_u32_e64 v106, s0, 0, v139, s0
	v_add_co_u32 v107, s0, 0x9d0, v138
	v_add_co_ci_u32_e64 v108, s0, 0, v139, s0
	ds_write_b128 v185, v[65:68]
	ds_write_b128 v185, v[69:72] offset:1360
	ds_write_b128 v185, v[73:76] offset:272
	;; [unrolled: 1-line block ×9, first 2 shown]
	s_waitcnt lgkmcnt(0)
	s_barrier
	buffer_gl0_inv
	s_clause 0x8
	global_load_dwordx4 v[72:75], v[124:125], off offset:32
	global_load_dwordx4 v[68:71], v[105:106], off offset:464
	global_load_dwordx4 v[76:79], v[107:108], off offset:32
	global_load_dwordx4 v[80:83], v[105:106], off offset:528
	global_load_dwordx4 v[64:67], v[105:106], off offset:400
	global_load_dwordx4 v[96:99], v[124:125], off offset:16
	global_load_dwordx4 v[92:95], v[124:125], off offset:48
	global_load_dwordx4 v[88:91], v[107:108], off offset:16
	global_load_dwordx4 v[84:87], v[107:108], off offset:48
	ds_read_b128 v[100:103], v255 offset:8160
	ds_read_b128 v[104:107], v255 offset:13600
	;; [unrolled: 1-line block ×9, first 2 shown]
	s_waitcnt vmcnt(8) lgkmcnt(8)
	v_mul_f64 v[136:137], v[102:103], v[74:75]
	v_mul_f64 v[138:139], v[100:101], v[74:75]
	s_waitcnt vmcnt(7) lgkmcnt(7)
	v_mul_f64 v[140:141], v[106:107], v[70:71]
	v_mul_f64 v[143:144], v[104:105], v[70:71]
	s_waitcnt vmcnt(6) lgkmcnt(6)
	v_mul_f64 v[145:146], v[108:109], v[78:79]
	s_waitcnt vmcnt(5) lgkmcnt(5)
	v_mul_f64 v[147:148], v[112:113], v[82:83]
	v_mul_f64 v[149:150], v[114:115], v[82:83]
	;; [unrolled: 1-line block ×3, first 2 shown]
	s_waitcnt vmcnt(4) lgkmcnt(4)
	v_mul_f64 v[153:154], v[118:119], v[66:67]
	v_mul_f64 v[155:156], v[116:117], v[66:67]
	s_waitcnt vmcnt(3) lgkmcnt(3)
	v_mul_f64 v[157:158], v[122:123], v[98:99]
	v_mul_f64 v[159:160], v[120:121], v[98:99]
	;; [unrolled: 3-line block ×3, first 2 shown]
	s_waitcnt vmcnt(1) lgkmcnt(1)
	v_mul_f64 v[165:166], v[130:131], v[90:91]
	s_waitcnt vmcnt(0) lgkmcnt(0)
	v_mul_f64 v[167:168], v[132:133], v[86:87]
	v_mul_f64 v[169:170], v[128:129], v[90:91]
	v_fma_f64 v[136:137], v[100:101], v[72:73], -v[136:137]
	v_fma_f64 v[138:139], v[102:103], v[72:73], v[138:139]
	v_fma_f64 v[104:105], v[104:105], v[68:69], -v[140:141]
	v_fma_f64 v[106:107], v[106:107], v[68:69], v[143:144]
	v_fma_f64 v[110:111], v[110:111], v[76:77], v[145:146]
	;; [unrolled: 1-line block ×3, first 2 shown]
	v_fma_f64 v[112:113], v[112:113], v[80:81], -v[149:150]
	v_fma_f64 v[108:109], v[108:109], v[76:77], -v[151:152]
	v_mul_f64 v[140:141], v[134:135], v[86:87]
	v_fma_f64 v[116:117], v[116:117], v[64:65], -v[153:154]
	v_fma_f64 v[118:119], v[118:119], v[64:65], v[155:156]
	v_fma_f64 v[120:121], v[120:121], v[96:97], -v[157:158]
	v_fma_f64 v[122:123], v[122:123], v[96:97], v[159:160]
	;; [unrolled: 2-line block ×4, first 2 shown]
	v_fma_f64 v[130:131], v[130:131], v[88:89], v[169:170]
	ds_read_b128 v[100:103], v255
	v_add_f64 v[183:184], v[136:137], -v[104:105]
	v_add_f64 v[188:189], v[104:105], -v[136:137]
	v_add_f64 v[143:144], v[106:107], v[110:111]
	v_add_f64 v[145:146], v[138:139], v[114:115]
	v_add_f64 v[147:148], v[136:137], v[112:113]
	v_add_f64 v[149:150], v[104:105], v[108:109]
	v_fma_f64 v[132:133], v[132:133], v[84:85], -v[140:141]
	v_add_f64 v[157:158], v[138:139], -v[114:115]
	v_add_f64 v[159:160], v[106:107], -v[110:111]
	;; [unrolled: 1-line block ×6, first 2 shown]
	v_add_f64 v[151:152], v[124:125], v[128:129]
	v_add_f64 v[181:182], v[122:123], v[134:135]
	;; [unrolled: 1-line block ×3, first 2 shown]
	v_add_f64 v[192:193], v[138:139], -v[106:107]
	v_add_f64 v[194:195], v[114:115], -v[110:111]
	;; [unrolled: 1-line block ×4, first 2 shown]
	s_waitcnt lgkmcnt(0)
	v_add_f64 v[140:141], v[100:101], v[120:121]
	v_add_f64 v[153:154], v[122:123], -v[134:135]
	v_add_f64 v[155:156], v[126:127], -v[130:131]
	;; [unrolled: 1-line block ×3, first 2 shown]
	v_fma_f64 v[143:144], v[143:144], -0.5, v[118:119]
	v_fma_f64 v[145:146], v[145:146], -0.5, v[118:119]
	;; [unrolled: 1-line block ×4, first 2 shown]
	v_add_f64 v[169:170], v[120:121], v[132:133]
	v_add_f64 v[167:168], v[132:133], -v[128:129]
	v_add_f64 v[171:172], v[124:125], -v[120:121]
	;; [unrolled: 1-line block ×3, first 2 shown]
	v_add_f64 v[175:176], v[102:103], v[122:123]
	v_add_f64 v[120:121], v[120:121], -v[132:133]
	v_add_f64 v[179:180], v[124:125], -v[128:129]
	v_add_f64 v[116:117], v[116:117], v[136:137]
	v_add_f64 v[118:119], v[118:119], v[138:139]
	v_fma_f64 v[136:137], v[151:152], -0.5, v[100:101]
	v_fma_f64 v[138:139], v[177:178], -0.5, v[102:103]
	;; [unrolled: 1-line block ×3, first 2 shown]
	v_add_f64 v[151:152], v[183:184], v[186:187]
	v_add_f64 v[177:178], v[192:193], v[194:195]
	;; [unrolled: 1-line block ×3, first 2 shown]
	v_add_f64 v[208:209], v[122:123], -v[126:127]
	v_add_f64 v[210:211], v[134:135], -v[130:131]
	;; [unrolled: 1-line block ×3, first 2 shown]
	v_fma_f64 v[200:201], v[161:162], s[18:19], v[143:144]
	v_fma_f64 v[202:203], v[163:164], s[8:9], v[145:146]
	;; [unrolled: 1-line block ×8, first 2 shown]
	v_fma_f64 v[100:101], v[169:170], -0.5, v[100:101]
	v_add_f64 v[169:170], v[188:189], v[190:191]
	v_add_f64 v[212:213], v[130:131], -v[134:135]
	v_add_f64 v[124:125], v[140:141], v[124:125]
	v_add_f64 v[140:141], v[165:166], v[167:168]
	;; [unrolled: 1-line block ×5, first 2 shown]
	v_fma_f64 v[116:117], v[153:154], s[8:9], v[136:137]
	v_fma_f64 v[118:119], v[153:154], s[18:19], v[136:137]
	;; [unrolled: 1-line block ×10, first 2 shown]
	v_add_f64 v[157:158], v[171:172], v[173:174]
	v_fma_f64 v[136:137], v[155:156], s[18:19], v[100:101]
	v_fma_f64 v[100:101], v[155:156], s[8:9], v[100:101]
	;; [unrolled: 1-line block ×6, first 2 shown]
	v_add_f64 v[122:123], v[122:123], v[212:213]
	v_add_f64 v[124:125], v[124:125], v[128:129]
	;; [unrolled: 1-line block ×5, first 2 shown]
	v_fma_f64 v[108:109], v[155:156], s[10:11], v[116:117]
	v_fma_f64 v[110:111], v[155:156], s[20:21], v[118:119]
	;; [unrolled: 1-line block ×10, first 2 shown]
	v_add_f64 v[151:152], v[208:209], v[210:211]
	v_fma_f64 v[116:117], v[153:154], s[10:11], v[136:137]
	v_fma_f64 v[100:101], v[153:154], s[20:21], v[100:101]
	;; [unrolled: 1-line block ×6, first 2 shown]
	v_add_f64 v[124:125], v[124:125], v[132:133]
	v_add_f64 v[126:127], v[126:127], v[134:135]
	;; [unrolled: 1-line block ×4, first 2 shown]
	v_fma_f64 v[112:113], v[140:141], s[16:17], v[108:109]
	v_fma_f64 v[114:115], v[140:141], s[16:17], v[110:111]
	v_mul_f64 v[120:121], v[163:164], s[10:11]
	v_mul_f64 v[136:137], v[165:166], s[8:9]
	;; [unrolled: 1-line block ×8, first 2 shown]
	v_fma_f64 v[132:133], v[157:158], s[16:17], v[116:117]
	v_fma_f64 v[134:135], v[157:158], s[16:17], v[100:101]
	;; [unrolled: 1-line block ×6, first 2 shown]
	v_add_f64 v[100:101], v[124:125], v[104:105]
	v_add_f64 v[102:103], v[126:127], v[106:107]
	v_add_f64 v[104:105], v[124:125], -v[104:105]
	v_add_f64 v[106:107], v[126:127], -v[106:107]
	v_fma_f64 v[120:121], v[149:150], s[22:23], v[120:121]
	v_fma_f64 v[122:123], v[147:148], s[16:17], v[136:137]
	v_fma_f64 v[145:146], v[145:146], s[8:9], -v[138:139]
	v_fma_f64 v[143:144], v[143:144], s[10:11], -v[153:154]
	v_fma_f64 v[147:148], v[163:164], s[22:23], v[155:156]
	v_fma_f64 v[149:150], v[165:166], s[16:17], v[159:160]
	v_fma_f64 v[153:154], v[167:168], s[18:19], -v[161:162]
	v_fma_f64 v[155:156], v[171:172], s[20:21], -v[169:170]
	v_add_f64 v[136:137], v[112:113], v[120:121]
	v_add_f64 v[128:129], v[132:133], v[122:123]
	;; [unrolled: 1-line block ×8, first 2 shown]
	v_add_f64 v[112:113], v[112:113], -v[120:121]
	v_add_f64 v[120:121], v[132:133], -v[122:123]
	;; [unrolled: 1-line block ×8, first 2 shown]
	ds_write_b128 v255, v[100:103]
	ds_write_b128 v255, v[104:107] offset:13600
	ds_write_b128 v255, v[136:139] offset:2720
	;; [unrolled: 1-line block ×9, first 2 shown]
	s_waitcnt lgkmcnt(0)
	s_barrier
	buffer_gl0_inv
	s_and_saveexec_b32 s1, vcc_lo
	s_cbranch_execz .LBB0_9
; %bb.8:
	v_add_co_u32 v141, s0, s12, v255
	v_add_co_ci_u32_e64 v140, null, s13, 0, s0
	ds_read_b128 v[143:146], v255
	v_add_co_u32 v155, s0, 0x6a40, v141
	v_add_co_ci_u32_e64 v156, s0, 0, v140, s0
	v_add_co_u32 v147, s0, 0x6800, v141
	v_add_co_ci_u32_e64 v148, s0, 0, v140, s0
	global_load_dwordx4 v[147:150], v[147:148], off offset:576
	s_waitcnt vmcnt(0) lgkmcnt(0)
	v_mul_f64 v[151:152], v[145:146], v[149:150]
	v_fma_f64 v[151:152], v[143:144], v[147:148], -v[151:152]
	v_mul_f64 v[143:144], v[143:144], v[149:150]
	v_fma_f64 v[153:154], v[145:146], v[147:148], v[143:144]
	global_load_dwordx4 v[147:150], v[155:156], off offset:1600
	ds_read_b128 v[143:146], v255 offset:1600
	ds_write_b128 v255, v[151:154]
	s_waitcnt vmcnt(0) lgkmcnt(1)
	v_mul_f64 v[151:152], v[145:146], v[149:150]
	v_fma_f64 v[151:152], v[143:144], v[147:148], -v[151:152]
	v_mul_f64 v[143:144], v[143:144], v[149:150]
	v_fma_f64 v[153:154], v[145:146], v[147:148], v[143:144]
	v_add_co_u32 v147, s0, 0x7000, v141
	v_add_co_ci_u32_e64 v148, s0, 0, v140, s0
	ds_read_b128 v[143:146], v255 offset:3200
	global_load_dwordx4 v[147:150], v[147:148], off offset:1728
	ds_write_b128 v255, v[151:154] offset:1600
	s_waitcnt vmcnt(0) lgkmcnt(1)
	v_mul_f64 v[151:152], v[145:146], v[149:150]
	v_fma_f64 v[151:152], v[143:144], v[147:148], -v[151:152]
	v_mul_f64 v[143:144], v[143:144], v[149:150]
	v_fma_f64 v[153:154], v[145:146], v[147:148], v[143:144]
	v_add_co_u32 v147, s0, 0x7800, v141
	v_add_co_ci_u32_e64 v148, s0, 0, v140, s0
	ds_read_b128 v[143:146], v255 offset:4800
	global_load_dwordx4 v[147:150], v[147:148], off offset:1280
	ds_write_b128 v255, v[151:154] offset:3200
	s_waitcnt vmcnt(0) lgkmcnt(1)
	v_mul_f64 v[151:152], v[145:146], v[149:150]
	v_fma_f64 v[151:152], v[143:144], v[147:148], -v[151:152]
	v_mul_f64 v[143:144], v[143:144], v[149:150]
	v_fma_f64 v[153:154], v[145:146], v[147:148], v[143:144]
	v_add_co_u32 v147, s0, 0x8000, v141
	v_add_co_ci_u32_e64 v148, s0, 0, v140, s0
	ds_read_b128 v[143:146], v255 offset:6400
	v_add_co_u32 v155, s0, 0x8800, v141
	global_load_dwordx4 v[147:150], v[147:148], off offset:832
	v_add_co_ci_u32_e64 v156, s0, 0, v140, s0
	ds_write_b128 v255, v[151:154] offset:4800
	s_waitcnt vmcnt(0) lgkmcnt(1)
	v_mul_f64 v[151:152], v[145:146], v[149:150]
	v_fma_f64 v[151:152], v[143:144], v[147:148], -v[151:152]
	v_mul_f64 v[143:144], v[143:144], v[149:150]
	v_fma_f64 v[153:154], v[145:146], v[147:148], v[143:144]
	global_load_dwordx4 v[147:150], v[155:156], off offset:384
	ds_read_b128 v[143:146], v255 offset:8000
	ds_write_b128 v255, v[151:154] offset:6400
	s_waitcnt vmcnt(0) lgkmcnt(1)
	v_mul_f64 v[151:152], v[145:146], v[149:150]
	v_fma_f64 v[151:152], v[143:144], v[147:148], -v[151:152]
	v_mul_f64 v[143:144], v[143:144], v[149:150]
	v_fma_f64 v[153:154], v[145:146], v[147:148], v[143:144]
	global_load_dwordx4 v[147:150], v[155:156], off offset:1984
	ds_read_b128 v[143:146], v255 offset:9600
	ds_write_b128 v255, v[151:154] offset:8000
	s_waitcnt vmcnt(0) lgkmcnt(1)
	v_mul_f64 v[151:152], v[145:146], v[149:150]
	v_fma_f64 v[151:152], v[143:144], v[147:148], -v[151:152]
	v_mul_f64 v[143:144], v[143:144], v[149:150]
	v_fma_f64 v[153:154], v[145:146], v[147:148], v[143:144]
	v_add_co_u32 v147, s0, 0x9000, v141
	v_add_co_ci_u32_e64 v148, s0, 0, v140, s0
	ds_read_b128 v[143:146], v255 offset:11200
	global_load_dwordx4 v[147:150], v[147:148], off offset:1536
	ds_write_b128 v255, v[151:154] offset:9600
	s_waitcnt vmcnt(0) lgkmcnt(1)
	v_mul_f64 v[151:152], v[145:146], v[149:150]
	v_fma_f64 v[151:152], v[143:144], v[147:148], -v[151:152]
	v_mul_f64 v[143:144], v[143:144], v[149:150]
	v_fma_f64 v[153:154], v[145:146], v[147:148], v[143:144]
	v_add_co_u32 v147, s0, 0x9800, v141
	v_add_co_ci_u32_e64 v148, s0, 0, v140, s0
	ds_read_b128 v[143:146], v255 offset:12800
	global_load_dwordx4 v[147:150], v[147:148], off offset:1088
	ds_write_b128 v255, v[151:154] offset:11200
	s_waitcnt vmcnt(0) lgkmcnt(1)
	v_mul_f64 v[151:152], v[145:146], v[149:150]
	v_fma_f64 v[151:152], v[143:144], v[147:148], -v[151:152]
	v_mul_f64 v[143:144], v[143:144], v[149:150]
	v_fma_f64 v[153:154], v[145:146], v[147:148], v[143:144]
	v_add_co_u32 v147, s0, 0xa000, v141
	v_add_co_ci_u32_e64 v148, s0, 0, v140, s0
	ds_read_b128 v[143:146], v255 offset:14400
	v_add_co_u32 v155, s0, 0xa800, v141
	global_load_dwordx4 v[147:150], v[147:148], off offset:640
	v_add_co_ci_u32_e64 v156, s0, 0, v140, s0
	ds_write_b128 v255, v[151:154] offset:12800
	s_waitcnt vmcnt(0) lgkmcnt(1)
	v_mul_f64 v[151:152], v[145:146], v[149:150]
	v_fma_f64 v[151:152], v[143:144], v[147:148], -v[151:152]
	v_mul_f64 v[143:144], v[143:144], v[149:150]
	v_fma_f64 v[153:154], v[145:146], v[147:148], v[143:144]
	global_load_dwordx4 v[147:150], v[155:156], off offset:192
	ds_read_b128 v[143:146], v255 offset:16000
	ds_write_b128 v255, v[151:154] offset:14400
	s_waitcnt vmcnt(0) lgkmcnt(1)
	v_mul_f64 v[151:152], v[145:146], v[149:150]
	v_fma_f64 v[151:152], v[143:144], v[147:148], -v[151:152]
	v_mul_f64 v[143:144], v[143:144], v[149:150]
	v_fma_f64 v[153:154], v[145:146], v[147:148], v[143:144]
	global_load_dwordx4 v[147:150], v[155:156], off offset:1792
	ds_read_b128 v[143:146], v255 offset:17600
	ds_write_b128 v255, v[151:154] offset:16000
	s_waitcnt vmcnt(0) lgkmcnt(1)
	v_mul_f64 v[151:152], v[145:146], v[149:150]
	v_fma_f64 v[151:152], v[143:144], v[147:148], -v[151:152]
	v_mul_f64 v[143:144], v[143:144], v[149:150]
	v_fma_f64 v[153:154], v[145:146], v[147:148], v[143:144]
	v_add_co_u32 v147, s0, 0xb000, v141
	v_add_co_ci_u32_e64 v148, s0, 0, v140, s0
	ds_read_b128 v[143:146], v255 offset:19200
	global_load_dwordx4 v[147:150], v[147:148], off offset:1344
	ds_write_b128 v255, v[151:154] offset:17600
	s_waitcnt vmcnt(0) lgkmcnt(1)
	v_mul_f64 v[151:152], v[145:146], v[149:150]
	v_fma_f64 v[151:152], v[143:144], v[147:148], -v[151:152]
	v_mul_f64 v[143:144], v[143:144], v[149:150]
	v_fma_f64 v[153:154], v[145:146], v[147:148], v[143:144]
	v_add_co_u32 v147, s0, 0xb800, v141
	v_add_co_ci_u32_e64 v148, s0, 0, v140, s0
	ds_read_b128 v[143:146], v255 offset:20800
	global_load_dwordx4 v[147:150], v[147:148], off offset:896
	ds_write_b128 v255, v[151:154] offset:19200
	s_waitcnt vmcnt(0) lgkmcnt(1)
	v_mul_f64 v[151:152], v[145:146], v[149:150]
	v_fma_f64 v[151:152], v[143:144], v[147:148], -v[151:152]
	v_mul_f64 v[143:144], v[143:144], v[149:150]
	v_fma_f64 v[153:154], v[145:146], v[147:148], v[143:144]
	v_add_co_u32 v147, s0, 0xc000, v141
	v_add_co_ci_u32_e64 v148, s0, 0, v140, s0
	ds_read_b128 v[143:146], v255 offset:22400
	v_add_co_u32 v155, s0, 0xc800, v141
	global_load_dwordx4 v[147:150], v[147:148], off offset:448
	v_add_co_ci_u32_e64 v156, s0, 0, v140, s0
	ds_write_b128 v255, v[151:154] offset:20800
	s_waitcnt vmcnt(0) lgkmcnt(1)
	v_mul_f64 v[151:152], v[145:146], v[149:150]
	v_fma_f64 v[151:152], v[143:144], v[147:148], -v[151:152]
	v_mul_f64 v[143:144], v[143:144], v[149:150]
	v_fma_f64 v[153:154], v[145:146], v[147:148], v[143:144]
	global_load_dwordx4 v[147:150], v[155:156], off
	ds_read_b128 v[143:146], v255 offset:24000
	ds_write_b128 v255, v[151:154] offset:22400
	s_waitcnt vmcnt(0) lgkmcnt(1)
	v_mul_f64 v[140:141], v[145:146], v[149:150]
	v_fma_f64 v[151:152], v[143:144], v[147:148], -v[140:141]
	v_mul_f64 v[140:141], v[143:144], v[149:150]
	v_fma_f64 v[153:154], v[145:146], v[147:148], v[140:141]
	global_load_dwordx4 v[147:150], v[155:156], off offset:1600
	ds_read_b128 v[143:146], v255 offset:25600
	ds_write_b128 v255, v[151:154] offset:24000
	s_waitcnt vmcnt(0) lgkmcnt(1)
	v_mul_f64 v[140:141], v[145:146], v[149:150]
	v_fma_f64 v[151:152], v[143:144], v[147:148], -v[140:141]
	v_mul_f64 v[140:141], v[143:144], v[149:150]
	v_fma_f64 v[153:154], v[145:146], v[147:148], v[140:141]
	ds_write_b128 v255, v[151:154] offset:25600
.LBB0_9:
	s_or_b32 exec_lo, exec_lo, s1
	s_waitcnt lgkmcnt(0)
	s_barrier
	buffer_gl0_inv
	s_and_saveexec_b32 s0, vcc_lo
	s_cbranch_execz .LBB0_11
; %bb.10:
	ds_read_b128 v[100:103], v255
	ds_read_b128 v[136:139], v255 offset:1600
	ds_read_b128 v[128:131], v255 offset:3200
	;; [unrolled: 1-line block ×16, first 2 shown]
.LBB0_11:
	s_or_b32 exec_lo, exec_lo, s0
	s_waitcnt lgkmcnt(0)
	s_barrier
	buffer_gl0_inv
	s_and_saveexec_b32 s33, vcc_lo
	s_cbranch_execz .LBB0_13
; %bb.12:
	v_add_f64 v[140:141], v[102:103], v[138:139]
	v_add_f64 v[143:144], v[100:101], v[136:137]
	v_add_f64 v[183:184], v[136:137], -v[0:1]
	v_add_f64 v[177:178], v[138:139], -v[2:3]
	s_mov_b32 s2, 0xacd6c6b4
	s_mov_b32 s3, 0xbfc7851a
	v_add_f64 v[151:152], v[128:129], -v[4:5]
	v_add_f64 v[181:182], v[138:139], v[2:3]
	v_add_f64 v[153:154], v[130:131], -v[6:7]
	v_add_f64 v[179:180], v[136:137], v[0:1]
	s_mov_b32 s8, 0x5d8e7cdc
	s_mov_b32 s0, 0x7faef3
	;; [unrolled: 1-line block ×4, first 2 shown]
	v_add_f64 v[149:150], v[108:109], -v[8:9]
	v_add_f64 v[159:160], v[130:131], v[6:7]
	v_add_f64 v[165:166], v[128:129], v[4:5]
	s_mov_b32 s10, 0x370991
	s_mov_b32 s18, 0x4363dd80
	;; [unrolled: 1-line block ×4, first 2 shown]
	v_add_f64 v[147:148], v[104:105], -v[16:17]
	v_add_f64 v[140:141], v[140:141], v[130:131]
	v_add_f64 v[143:144], v[143:144], v[128:129]
	v_mul_f64 v[157:158], v[183:184], s[2:3]
	v_mul_f64 v[163:164], v[177:178], s[2:3]
	v_add_f64 v[130:131], v[110:111], -v[10:11]
	v_add_f64 v[155:156], v[116:117], -v[12:13]
	v_mul_f64 v[186:187], v[151:152], s[8:9]
	v_add_f64 v[175:176], v[110:111], v[10:11]
	v_mul_f64 v[188:189], v[153:154], s[8:9]
	v_add_f64 v[169:170], v[118:119], -v[14:15]
	v_add_f64 v[173:174], v[108:109], v[8:9]
	v_add_f64 v[171:172], v[118:119], v[14:15]
	s_mov_b32 s26, 0x2a9d6da3
	s_mov_b32 s16, 0x910ea3b9
	;; [unrolled: 1-line block ×4, first 2 shown]
	v_add_f64 v[138:139], v[124:125], -v[132:133]
	v_add_f64 v[136:137], v[126:127], v[134:135]
	s_mov_b32 s20, 0x75d4884
	s_mov_b32 s24, 0x6c9a05f6
	;; [unrolled: 1-line block ×4, first 2 shown]
	v_add_f64 v[140:141], v[140:141], v[110:111]
	v_add_f64 v[143:144], v[143:144], v[108:109]
	v_fma_f64 v[128:129], v[181:182], s[0:1], v[157:158]
	v_fma_f64 v[190:191], v[179:180], s[0:1], -v[163:164]
	v_fma_f64 v[192:193], v[181:182], s[0:1], -v[157:158]
	v_add_f64 v[157:158], v[104:105], v[16:17]
	v_fma_f64 v[108:109], v[159:160], s[10:11], v[186:187]
	v_fma_f64 v[186:187], v[159:160], s[10:11], -v[186:187]
	v_fma_f64 v[196:197], v[165:166], s[10:11], -v[188:189]
	s_mov_b32 s22, 0x6ed5f1bb
	s_mov_b32 s30, 0x7c9e640b
	;; [unrolled: 1-line block ×13, first 2 shown]
	v_add_f64 v[140:141], v[140:141], v[118:119]
	v_add_f64 v[143:144], v[143:144], v[116:117]
	;; [unrolled: 1-line block ×6, first 2 shown]
	s_mov_b32 s35, 0x3fb79ee6
	s_mov_b32 s41, 0xbfefdd0d
	;; [unrolled: 1-line block ×15, first 2 shown]
	v_add_f64 v[140:141], v[140:141], v[106:107]
	v_add_f64 v[143:144], v[143:144], v[104:105]
	v_mul_f64 v[104:105], v[149:150], s[18:19]
	v_add_f64 v[108:109], v[108:109], v[118:119]
	v_add_f64 v[118:119], v[196:197], v[190:191]
	v_add_f64 v[186:187], v[186:187], v[192:193]
	v_mul_f64 v[190:191], v[169:170], s[26:27]
	v_mul_f64 v[192:193], v[183:184], s[18:19]
	v_add_f64 v[145:146], v[140:141], v[114:115]
	v_add_f64 v[143:144], v[143:144], v[112:113]
	v_add_f64 v[140:141], v[120:121], -v[24:25]
	v_add_f64 v[161:162], v[145:146], v[122:123]
	v_add_f64 v[167:168], v[143:144], v[120:121]
	;; [unrolled: 1-line block ×3, first 2 shown]
	v_add_f64 v[143:144], v[112:113], -v[20:21]
	v_add_f64 v[122:123], v[122:123], -v[26:27]
	v_add_f64 v[120:121], v[120:121], v[24:25]
	v_add_f64 v[110:111], v[161:162], v[126:127]
	;; [unrolled: 1-line block ×3, first 2 shown]
	v_add_f64 v[161:162], v[106:107], -v[18:19]
	v_add_f64 v[167:168], v[116:117], v[12:13]
	v_mul_f64 v[106:107], v[130:131], s[18:19]
	v_fma_f64 v[116:117], v[179:180], s[0:1], v[163:164]
	v_add_f64 v[124:125], v[124:125], v[132:133]
	v_add_f64 v[126:127], v[126:127], -v[134:135]
	v_add_f64 v[163:164], v[114:115], -v[22:23]
	v_add_f64 v[198:199], v[110:111], v[134:135]
	v_add_f64 v[194:195], v[194:195], v[132:133]
	;; [unrolled: 1-line block ×4, first 2 shown]
	v_mul_f64 v[110:111], v[155:156], s[26:27]
	v_fma_f64 v[112:113], v[165:166], s[10:11], v[188:189]
	v_add_f64 v[114:115], v[100:101], v[116:117]
	v_fma_f64 v[116:117], v[175:176], s[16:17], v[104:105]
	v_fma_f64 v[188:189], v[173:174], s[16:17], -v[106:107]
	v_fma_f64 v[104:105], v[175:176], s[16:17], -v[104:105]
	v_fma_f64 v[106:107], v[173:174], s[16:17], v[106:107]
	v_add_f64 v[26:27], v[198:199], v[26:27]
	v_add_f64 v[24:25], v[194:195], v[24:25]
	v_mul_f64 v[194:195], v[153:154], s[42:43]
	v_add_f64 v[112:113], v[112:113], v[114:115]
	v_mul_f64 v[114:115], v[147:148], s[24:25]
	v_add_f64 v[108:109], v[116:117], v[108:109]
	v_fma_f64 v[116:117], v[171:172], s[20:21], v[110:111]
	v_add_f64 v[118:119], v[188:189], v[118:119]
	v_fma_f64 v[188:189], v[167:168], s[20:21], -v[190:191]
	v_add_f64 v[104:105], v[104:105], v[186:187]
	v_mul_f64 v[186:187], v[161:162], s[24:25]
	v_fma_f64 v[110:111], v[171:172], s[20:21], -v[110:111]
	v_fma_f64 v[190:191], v[167:168], s[20:21], v[190:191]
	v_add_f64 v[22:23], v[26:27], v[22:23]
	v_add_f64 v[20:21], v[24:25], v[20:21]
	;; [unrolled: 1-line block ×3, first 2 shown]
	v_mul_f64 v[112:113], v[143:144], s[30:31]
	v_add_f64 v[108:109], v[116:117], v[108:109]
	v_fma_f64 v[116:117], v[145:146], s[22:23], v[114:115]
	v_add_f64 v[118:119], v[188:189], v[118:119]
	v_fma_f64 v[114:115], v[145:146], s[22:23], -v[114:115]
	v_fma_f64 v[188:189], v[157:158], s[22:23], -v[186:187]
	v_add_f64 v[104:105], v[110:111], v[104:105]
	v_mul_f64 v[110:111], v[163:164], s[30:31]
	v_fma_f64 v[186:187], v[157:158], s[22:23], v[186:187]
	v_add_f64 v[18:19], v[22:23], v[18:19]
	v_add_f64 v[16:17], v[20:21], v[16:17]
	v_mul_f64 v[22:23], v[130:131], s[44:45]
	v_add_f64 v[106:107], v[190:191], v[106:107]
	v_mul_f64 v[190:191], v[140:141], s[38:39]
	v_add_f64 v[108:109], v[116:117], v[108:109]
	v_fma_f64 v[116:117], v[134:135], s[28:29], v[112:113]
	v_fma_f64 v[112:113], v[134:135], s[28:29], -v[112:113]
	v_add_f64 v[118:119], v[188:189], v[118:119]
	v_add_f64 v[104:105], v[114:115], v[104:105]
	v_fma_f64 v[188:189], v[132:133], s[28:29], -v[110:111]
	v_mul_f64 v[114:115], v[122:123], s[38:39]
	v_fma_f64 v[110:111], v[132:133], s[28:29], v[110:111]
	v_add_f64 v[106:107], v[186:187], v[106:107]
	v_mul_f64 v[186:187], v[138:139], s[48:49]
	v_add_f64 v[108:109], v[116:117], v[108:109]
	v_fma_f64 v[116:117], v[128:129], s[36:37], v[190:191]
	v_fma_f64 v[190:191], v[128:129], s[36:37], -v[190:191]
	v_add_f64 v[104:105], v[112:113], v[104:105]
	v_add_f64 v[118:119], v[188:189], v[118:119]
	v_fma_f64 v[188:189], v[120:121], s[36:37], -v[114:115]
	v_mul_f64 v[112:113], v[126:127], s[48:49]
	v_add_f64 v[106:107], v[110:111], v[106:107]
	v_fma_f64 v[110:111], v[120:121], s[36:37], v[114:115]
	v_fma_f64 v[114:115], v[136:137], s[34:35], v[186:187]
	v_fma_f64 v[186:187], v[136:137], s[34:35], -v[186:187]
	v_add_f64 v[108:109], v[116:117], v[108:109]
	v_add_f64 v[116:117], v[188:189], v[118:119]
	v_fma_f64 v[118:119], v[124:125], s[34:35], -v[112:113]
	v_add_f64 v[188:189], v[190:191], v[104:105]
	v_mul_f64 v[190:191], v[151:152], s[30:31]
	v_fma_f64 v[112:113], v[124:125], s[34:35], v[112:113]
	v_add_f64 v[196:197], v[110:111], v[106:107]
	v_fma_f64 v[110:111], v[181:182], s[16:17], v[192:193]
	v_fma_f64 v[192:193], v[181:182], s[16:17], -v[192:193]
	v_add_f64 v[106:107], v[114:115], v[108:109]
	v_add_f64 v[104:105], v[118:119], v[116:117]
	v_mul_f64 v[116:117], v[177:178], s[18:19]
	v_fma_f64 v[114:115], v[159:160], s[28:29], v[190:191]
	v_fma_f64 v[190:191], v[159:160], s[28:29], -v[190:191]
	v_add_f64 v[108:109], v[112:113], v[196:197]
	v_add_f64 v[118:119], v[102:103], v[110:111]
	;; [unrolled: 1-line block ×3, first 2 shown]
	v_mul_f64 v[186:187], v[153:154], s[30:31]
	v_add_f64 v[192:193], v[102:103], v[192:193]
	v_fma_f64 v[112:113], v[179:180], s[16:17], -v[116:117]
	v_fma_f64 v[116:117], v[179:180], s[16:17], v[116:117]
	v_add_f64 v[114:115], v[114:115], v[118:119]
	v_fma_f64 v[118:119], v[165:166], s[28:29], -v[186:187]
	v_add_f64 v[190:191], v[190:191], v[192:193]
	v_fma_f64 v[186:187], v[165:166], s[28:29], v[186:187]
	v_mul_f64 v[192:193], v[177:178], s[24:25]
	v_add_f64 v[112:113], v[100:101], v[112:113]
	v_add_f64 v[116:117], v[100:101], v[116:117]
	;; [unrolled: 1-line block ×3, first 2 shown]
	v_mul_f64 v[118:119], v[149:150], s[40:41]
	v_add_f64 v[116:117], v[186:187], v[116:117]
	v_fma_f64 v[188:189], v[175:176], s[34:35], v[118:119]
	v_fma_f64 v[118:119], v[175:176], s[34:35], -v[118:119]
	v_add_f64 v[114:115], v[188:189], v[114:115]
	v_mul_f64 v[188:189], v[130:131], s[40:41]
	v_add_f64 v[118:119], v[118:119], v[190:191]
	v_fma_f64 v[196:197], v[173:174], s[34:35], -v[188:189]
	v_add_f64 v[112:113], v[196:197], v[112:113]
	v_mul_f64 v[196:197], v[155:156], s[46:47]
	v_fma_f64 v[200:201], v[171:172], s[22:23], v[196:197]
	v_fma_f64 v[190:191], v[171:172], s[22:23], -v[196:197]
	v_add_f64 v[114:115], v[200:201], v[114:115]
	v_mul_f64 v[200:201], v[169:170], s[46:47]
	v_add_f64 v[118:119], v[190:191], v[118:119]
	v_mul_f64 v[190:191], v[183:184], s[24:25]
	v_fma_f64 v[202:203], v[167:168], s[22:23], -v[200:201]
	v_add_f64 v[112:113], v[202:203], v[112:113]
	v_mul_f64 v[202:203], v[147:148], s[44:45]
	v_fma_f64 v[204:205], v[145:146], s[10:11], v[202:203]
	v_fma_f64 v[186:187], v[145:146], s[10:11], -v[202:203]
	v_add_f64 v[114:115], v[204:205], v[114:115]
	v_mul_f64 v[204:205], v[161:162], s[44:45]
	v_add_f64 v[118:119], v[186:187], v[118:119]
	v_fma_f64 v[186:187], v[173:174], s[34:35], v[188:189]
	v_fma_f64 v[206:207], v[157:158], s[10:11], -v[204:205]
	v_add_f64 v[116:117], v[186:187], v[116:117]
	v_fma_f64 v[186:187], v[167:168], s[22:23], v[200:201]
	v_add_f64 v[112:113], v[206:207], v[112:113]
	v_mul_f64 v[206:207], v[143:144], s[2:3]
	v_add_f64 v[116:117], v[186:187], v[116:117]
	v_fma_f64 v[208:209], v[134:135], s[0:1], v[206:207]
	v_fma_f64 v[186:187], v[134:135], s[0:1], -v[206:207]
	v_add_f64 v[114:115], v[208:209], v[114:115]
	v_mul_f64 v[208:209], v[163:164], s[2:3]
	v_add_f64 v[118:119], v[186:187], v[118:119]
	v_fma_f64 v[186:187], v[157:158], s[10:11], v[204:205]
	v_fma_f64 v[210:211], v[132:133], s[0:1], -v[208:209]
	v_add_f64 v[116:117], v[186:187], v[116:117]
	v_add_f64 v[112:113], v[210:211], v[112:113]
	v_mul_f64 v[210:211], v[140:141], s[26:27]
	v_fma_f64 v[212:213], v[128:129], s[20:21], v[210:211]
	v_fma_f64 v[186:187], v[128:129], s[20:21], -v[210:211]
	v_add_f64 v[114:115], v[212:213], v[114:115]
	v_mul_f64 v[212:213], v[122:123], s[26:27]
	v_add_f64 v[118:119], v[186:187], v[118:119]
	v_fma_f64 v[186:187], v[132:133], s[0:1], v[208:209]
	v_fma_f64 v[214:215], v[120:121], s[20:21], -v[212:213]
	v_add_f64 v[116:117], v[186:187], v[116:117]
	v_fma_f64 v[186:187], v[120:121], s[20:21], v[212:213]
	v_add_f64 v[112:113], v[214:215], v[112:113]
	v_mul_f64 v[214:215], v[138:139], s[38:39]
	v_add_f64 v[116:117], v[186:187], v[116:117]
	v_fma_f64 v[216:217], v[136:137], s[36:37], v[214:215]
	v_fma_f64 v[186:187], v[136:137], s[36:37], -v[214:215]
	v_add_f64 v[114:115], v[216:217], v[114:115]
	v_mul_f64 v[216:217], v[126:127], s[38:39]
	v_add_f64 v[118:119], v[186:187], v[118:119]
	v_mul_f64 v[186:187], v[151:152], s[42:43]
	v_fma_f64 v[188:189], v[124:125], s[36:37], v[216:217]
	v_fma_f64 v[218:219], v[124:125], s[36:37], -v[216:217]
	v_fma_f64 v[24:25], v[159:160], s[36:37], v[186:187]
	v_fma_f64 v[186:187], v[159:160], s[36:37], -v[186:187]
	v_add_f64 v[116:117], v[188:189], v[116:117]
	v_fma_f64 v[188:189], v[181:182], s[22:23], v[190:191]
	v_fma_f64 v[190:191], v[181:182], s[22:23], -v[190:191]
	v_add_f64 v[112:113], v[218:219], v[112:113]
	v_add_f64 v[26:27], v[102:103], v[188:189]
	v_fma_f64 v[188:189], v[179:180], s[22:23], -v[192:193]
	v_add_f64 v[190:191], v[102:103], v[190:191]
	v_add_f64 v[24:25], v[24:25], v[26:27]
	;; [unrolled: 1-line block ×3, first 2 shown]
	v_fma_f64 v[188:189], v[165:166], s[36:37], -v[194:195]
	v_add_f64 v[186:187], v[186:187], v[190:191]
	v_fma_f64 v[190:191], v[179:180], s[22:23], v[192:193]
	v_fma_f64 v[192:193], v[165:166], s[36:37], v[194:195]
	v_add_f64 v[26:27], v[188:189], v[26:27]
	v_mul_f64 v[188:189], v[149:150], s[44:45]
	v_add_f64 v[190:191], v[100:101], v[190:191]
	v_fma_f64 v[20:21], v[175:176], s[10:11], v[188:189]
	v_fma_f64 v[188:189], v[175:176], s[10:11], -v[188:189]
	v_add_f64 v[190:191], v[192:193], v[190:191]
	v_add_f64 v[20:21], v[20:21], v[24:25]
	v_fma_f64 v[24:25], v[173:174], s[10:11], -v[22:23]
	v_add_f64 v[186:187], v[188:189], v[186:187]
	v_fma_f64 v[22:23], v[173:174], s[10:11], v[22:23]
	v_mul_f64 v[188:189], v[140:141], s[2:3]
	v_add_f64 v[24:25], v[24:25], v[26:27]
	v_mul_f64 v[26:27], v[155:156], s[18:19]
	v_add_f64 v[22:23], v[22:23], v[190:191]
	v_fma_f64 v[196:197], v[171:172], s[16:17], v[26:27]
	v_fma_f64 v[26:27], v[171:172], s[16:17], -v[26:27]
	v_add_f64 v[20:21], v[196:197], v[20:21]
	v_mul_f64 v[196:197], v[169:170], s[18:19]
	v_add_f64 v[26:27], v[26:27], v[186:187]
	v_fma_f64 v[198:199], v[167:168], s[16:17], -v[196:197]
	v_fma_f64 v[186:187], v[167:168], s[16:17], v[196:197]
	v_add_f64 v[196:197], v[16:17], v[12:13]
	v_add_f64 v[24:25], v[198:199], v[24:25]
	v_mul_f64 v[198:199], v[147:148], s[48:49]
	v_add_f64 v[22:23], v[186:187], v[22:23]
	v_add_f64 v[8:9], v[196:197], v[8:9]
	v_mul_f64 v[196:197], v[177:178], s[40:41]
	v_fma_f64 v[200:201], v[145:146], s[34:35], v[198:199]
	v_fma_f64 v[186:187], v[145:146], s[34:35], -v[198:199]
	v_mul_f64 v[198:199], v[183:184], s[38:39]
	v_add_f64 v[20:21], v[200:201], v[20:21]
	v_mul_f64 v[200:201], v[161:162], s[48:49]
	v_add_f64 v[26:27], v[186:187], v[26:27]
	v_fma_f64 v[186:187], v[128:129], s[0:1], v[188:189]
	v_fma_f64 v[188:189], v[128:129], s[0:1], -v[188:189]
	v_fma_f64 v[202:203], v[157:158], s[34:35], -v[200:201]
	v_fma_f64 v[190:191], v[157:158], s[34:35], v[200:201]
	v_mul_f64 v[200:201], v[183:184], s[40:41]
	v_add_f64 v[24:25], v[202:203], v[24:25]
	v_mul_f64 v[202:203], v[143:144], s[50:51]
	v_add_f64 v[22:23], v[190:191], v[22:23]
	v_mul_f64 v[190:191], v[122:123], s[2:3]
	v_fma_f64 v[204:205], v[134:135], s[20:21], v[202:203]
	v_fma_f64 v[192:193], v[134:135], s[20:21], -v[202:203]
	v_add_f64 v[20:21], v[204:205], v[20:21]
	v_mul_f64 v[204:205], v[163:164], s[50:51]
	v_add_f64 v[26:27], v[192:193], v[26:27]
	v_mul_f64 v[192:193], v[138:139], s[30:31]
	v_add_f64 v[20:21], v[186:187], v[20:21]
	v_fma_f64 v[206:207], v[132:133], s[20:21], -v[204:205]
	v_fma_f64 v[194:195], v[132:133], s[20:21], v[204:205]
	v_fma_f64 v[186:187], v[120:121], s[0:1], -v[190:191]
	v_fma_f64 v[190:191], v[120:121], s[0:1], v[190:191]
	v_add_f64 v[26:27], v[188:189], v[26:27]
	v_fma_f64 v[204:205], v[179:180], s[34:35], -v[196:197]
	v_fma_f64 v[196:197], v[179:180], s[34:35], v[196:197]
	v_add_f64 v[24:25], v[206:207], v[24:25]
	v_add_f64 v[22:23], v[194:195], v[22:23]
	v_mul_f64 v[194:195], v[126:127], s[30:31]
	v_add_f64 v[196:197], v[100:101], v[196:197]
	v_add_f64 v[24:25], v[186:187], v[24:25]
	v_fma_f64 v[186:187], v[136:137], s[28:29], v[192:193]
	v_fma_f64 v[188:189], v[124:125], s[28:29], -v[194:195]
	v_add_f64 v[22:23], v[190:191], v[22:23]
	v_fma_f64 v[190:191], v[136:137], s[28:29], -v[192:193]
	v_fma_f64 v[192:193], v[124:125], s[28:29], v[194:195]
	v_add_f64 v[194:195], v[18:19], v[14:15]
	v_add_f64 v[14:15], v[186:187], v[20:21]
	v_mul_f64 v[20:21], v[183:184], s[52:53]
	v_add_f64 v[12:13], v[188:189], v[24:25]
	v_mul_f64 v[24:25], v[183:184], s[50:51]
	v_mul_f64 v[183:184], v[183:184], s[44:45]
	v_add_f64 v[10:11], v[194:195], v[10:11]
	v_add_f64 v[16:17], v[192:193], v[22:23]
	v_fma_f64 v[22:23], v[181:182], s[36:37], -v[198:199]
	v_add_f64 v[18:19], v[190:191], v[26:27]
	v_fma_f64 v[26:27], v[181:182], s[36:37], v[198:199]
	v_fma_f64 v[186:187], v[181:182], s[34:35], v[200:201]
	v_fma_f64 v[188:189], v[181:182], s[34:35], -v[200:201]
	v_mul_f64 v[198:199], v[177:178], s[52:53]
	v_mul_f64 v[200:201], v[177:178], s[50:51]
	v_fma_f64 v[190:191], v[181:182], s[28:29], v[20:21]
	v_fma_f64 v[20:21], v[181:182], s[28:29], -v[20:21]
	v_fma_f64 v[192:193], v[181:182], s[20:21], -v[24:25]
	v_fma_f64 v[24:25], v[181:182], s[20:21], v[24:25]
	v_add_f64 v[6:7], v[10:11], v[6:7]
	v_add_f64 v[10:11], v[8:9], v[4:5]
	v_mul_f64 v[4:5], v[151:152], s[54:55]
	v_fma_f64 v[194:195], v[181:182], s[10:11], -v[183:184]
	v_fma_f64 v[181:182], v[181:182], s[10:11], v[183:184]
	v_mul_f64 v[183:184], v[177:178], s[38:39]
	v_mul_f64 v[177:178], v[177:178], s[44:45]
	v_add_f64 v[22:23], v[102:103], v[22:23]
	v_fma_f64 v[206:207], v[179:180], s[28:29], -v[198:199]
	v_fma_f64 v[198:199], v[179:180], s[28:29], v[198:199]
	v_fma_f64 v[208:209], v[179:180], s[20:21], v[200:201]
	v_fma_f64 v[200:201], v[179:180], s[20:21], -v[200:201]
	v_add_f64 v[26:27], v[102:103], v[26:27]
	v_add_f64 v[186:187], v[102:103], v[186:187]
	;; [unrolled: 1-line block ×7, first 2 shown]
	v_fma_f64 v[8:9], v[159:160], s[16:17], -v[4:5]
	v_fma_f64 v[4:5], v[159:160], s[16:17], v[4:5]
	v_add_f64 v[194:195], v[102:103], v[194:195]
	v_fma_f64 v[202:203], v[179:180], s[36:37], -v[183:184]
	v_fma_f64 v[183:184], v[179:180], s[36:37], v[183:184]
	v_fma_f64 v[210:211], v[179:180], s[10:11], v[177:178]
	v_fma_f64 v[177:178], v[179:180], s[10:11], -v[177:178]
	v_add_f64 v[198:199], v[100:101], v[198:199]
	v_add_f64 v[208:209], v[100:101], v[208:209]
	v_add_f64 v[200:201], v[100:101], v[200:201]
	v_add_f64 v[102:103], v[102:103], v[181:182]
	v_add_f64 v[8:9], v[8:9], v[22:23]
	v_mul_f64 v[22:23], v[153:154], s[54:55]
	v_add_f64 v[4:5], v[4:5], v[26:27]
	v_add_f64 v[179:180], v[100:101], v[202:203]
	;; [unrolled: 1-line block ×7, first 2 shown]
	v_mul_f64 v[177:178], v[149:150], s[26:27]
	v_fma_f64 v[26:27], v[165:166], s[16:17], -v[22:23]
	v_fma_f64 v[22:23], v[165:166], s[16:17], v[22:23]
	v_add_f64 v[26:27], v[26:27], v[179:180]
	v_fma_f64 v[179:180], v[175:176], s[20:21], -v[177:178]
	v_fma_f64 v[177:178], v[175:176], s[20:21], v[177:178]
	v_add_f64 v[22:23], v[22:23], v[183:184]
	v_add_f64 v[8:9], v[179:180], v[8:9]
	;; [unrolled: 1-line block ×3, first 2 shown]
	v_mul_f64 v[177:178], v[130:131], s[26:27]
	v_fma_f64 v[179:180], v[173:174], s[20:21], -v[177:178]
	v_fma_f64 v[177:178], v[173:174], s[20:21], v[177:178]
	v_add_f64 v[26:27], v[179:180], v[26:27]
	v_mul_f64 v[179:180], v[155:156], s[52:53]
	v_add_f64 v[22:23], v[177:178], v[22:23]
	v_mul_f64 v[177:178], v[151:152], s[2:3]
	v_fma_f64 v[181:182], v[171:172], s[28:29], -v[179:180]
	v_fma_f64 v[179:180], v[171:172], s[28:29], v[179:180]
	v_add_f64 v[8:9], v[181:182], v[8:9]
	v_add_f64 v[4:5], v[179:180], v[4:5]
	v_mul_f64 v[179:180], v[169:170], s[52:53]
	v_fma_f64 v[181:182], v[167:168], s[28:29], -v[179:180]
	v_fma_f64 v[179:180], v[167:168], s[28:29], v[179:180]
	v_add_f64 v[26:27], v[181:182], v[26:27]
	v_mul_f64 v[181:182], v[147:148], s[2:3]
	v_add_f64 v[22:23], v[179:180], v[22:23]
	v_mul_f64 v[179:180], v[149:150], s[42:43]
	v_fma_f64 v[210:211], v[145:146], s[0:1], -v[181:182]
	v_fma_f64 v[181:182], v[145:146], s[0:1], v[181:182]
	v_add_f64 v[8:9], v[210:211], v[8:9]
	v_add_f64 v[4:5], v[181:182], v[4:5]
	v_mul_f64 v[181:182], v[161:162], s[2:3]
	v_fma_f64 v[210:211], v[157:158], s[0:1], -v[181:182]
	v_fma_f64 v[181:182], v[157:158], s[0:1], v[181:182]
	v_add_f64 v[26:27], v[210:211], v[26:27]
	v_mul_f64 v[210:211], v[143:144], s[48:49]
	v_add_f64 v[22:23], v[181:182], v[22:23]
	v_fma_f64 v[183:184], v[134:135], s[34:35], v[210:211]
	v_fma_f64 v[212:213], v[134:135], s[34:35], -v[210:211]
	v_add_f64 v[4:5], v[183:184], v[4:5]
	v_mul_f64 v[183:184], v[163:164], s[48:49]
	v_add_f64 v[8:9], v[212:213], v[8:9]
	s_mov_b32 s49, 0x3fc7851a
	s_mov_b32 s48, s2
	v_fma_f64 v[210:211], v[132:133], s[34:35], -v[183:184]
	v_fma_f64 v[183:184], v[132:133], s[34:35], v[183:184]
	v_add_f64 v[26:27], v[210:211], v[26:27]
	v_mul_f64 v[210:211], v[140:141], s[44:45]
	v_add_f64 v[22:23], v[183:184], v[22:23]
	v_mul_f64 v[183:184], v[153:154], s[24:25]
	v_fma_f64 v[212:213], v[128:129], s[10:11], -v[210:211]
	v_fma_f64 v[210:211], v[128:129], s[10:11], v[210:211]
	v_add_f64 v[8:9], v[212:213], v[8:9]
	v_fma_f64 v[212:213], v[159:160], s[0:1], v[177:178]
	v_fma_f64 v[177:178], v[159:160], s[0:1], -v[177:178]
	v_add_f64 v[210:211], v[210:211], v[4:5]
	v_mul_f64 v[4:5], v[122:123], s[44:45]
	v_add_f64 v[186:187], v[212:213], v[186:187]
	v_add_f64 v[177:178], v[177:178], v[188:189]
	v_fma_f64 v[188:189], v[175:176], s[36:37], v[179:180]
	v_fma_f64 v[179:180], v[175:176], s[36:37], -v[179:180]
	v_fma_f64 v[212:213], v[120:121], s[10:11], -v[4:5]
	v_fma_f64 v[4:5], v[120:121], s[10:11], v[4:5]
	v_add_f64 v[186:187], v[188:189], v[186:187]
	v_add_f64 v[177:178], v[179:180], v[177:178]
	v_mul_f64 v[179:180], v[155:156], s[8:9]
	v_add_f64 v[212:213], v[212:213], v[26:27]
	v_mul_f64 v[26:27], v[153:154], s[2:3]
	v_mul_f64 v[188:189], v[130:131], s[42:43]
	v_fma_f64 v[181:182], v[171:172], s[10:11], v[179:180]
	v_fma_f64 v[179:180], v[171:172], s[10:11], -v[179:180]
	v_fma_f64 v[214:215], v[165:166], s[0:1], -v[26:27]
	v_fma_f64 v[26:27], v[165:166], s[0:1], v[26:27]
	v_add_f64 v[181:182], v[181:182], v[186:187]
	v_mul_f64 v[186:187], v[151:152], s[24:25]
	v_add_f64 v[202:203], v[214:215], v[202:203]
	v_add_f64 v[26:27], v[26:27], v[196:197]
	v_fma_f64 v[214:215], v[173:174], s[36:37], -v[188:189]
	v_add_f64 v[177:178], v[179:180], v[177:178]
	v_mul_f64 v[179:180], v[147:148], s[52:53]
	v_fma_f64 v[196:197], v[159:160], s[22:23], v[186:187]
	v_fma_f64 v[186:187], v[159:160], s[22:23], -v[186:187]
	v_add_f64 v[202:203], v[214:215], v[202:203]
	v_add_f64 v[190:191], v[196:197], v[190:191]
	v_mul_f64 v[196:197], v[169:170], s[8:9]
	v_add_f64 v[20:21], v[186:187], v[20:21]
	v_fma_f64 v[186:187], v[173:174], s[36:37], v[188:189]
	v_fma_f64 v[214:215], v[167:168], s[10:11], -v[196:197]
	v_add_f64 v[26:27], v[186:187], v[26:27]
	v_mul_f64 v[186:187], v[149:150], s[48:49]
	v_add_f64 v[202:203], v[214:215], v[202:203]
	v_fma_f64 v[214:215], v[165:166], s[22:23], -v[183:184]
	v_fma_f64 v[183:184], v[165:166], s[22:23], v[183:184]
	v_fma_f64 v[188:189], v[175:176], s[0:1], v[186:187]
	v_fma_f64 v[186:187], v[175:176], s[0:1], -v[186:187]
	v_add_f64 v[204:205], v[214:215], v[204:205]
	v_fma_f64 v[214:215], v[145:146], s[28:29], v[179:180]
	v_add_f64 v[188:189], v[188:189], v[190:191]
	v_mul_f64 v[190:191], v[161:162], s[52:53]
	v_fma_f64 v[179:180], v[145:146], s[28:29], -v[179:180]
	v_add_f64 v[20:21], v[186:187], v[20:21]
	v_fma_f64 v[186:187], v[167:168], s[10:11], v[196:197]
	v_add_f64 v[183:184], v[183:184], v[198:199]
	v_mul_f64 v[198:199], v[169:170], s[42:43]
	v_add_f64 v[181:182], v[214:215], v[181:182]
	v_fma_f64 v[214:215], v[157:158], s[28:29], -v[190:191]
	v_add_f64 v[177:178], v[179:180], v[177:178]
	v_mul_f64 v[179:180], v[143:144], s[18:19]
	v_add_f64 v[26:27], v[186:187], v[26:27]
	v_mul_f64 v[186:187], v[155:156], s[42:43]
	;; [unrolled: 2-line block ×3, first 2 shown]
	v_fma_f64 v[196:197], v[171:172], s[36:37], v[186:187]
	v_fma_f64 v[216:217], v[173:174], s[0:1], -v[214:215]
	v_add_f64 v[188:189], v[196:197], v[188:189]
	v_mul_f64 v[196:197], v[163:164], s[18:19]
	v_add_f64 v[204:205], v[216:217], v[204:205]
	v_fma_f64 v[216:217], v[134:135], s[16:17], v[179:180]
	v_fma_f64 v[179:180], v[134:135], s[16:17], -v[179:180]
	v_add_f64 v[181:182], v[216:217], v[181:182]
	v_add_f64 v[177:178], v[179:180], v[177:178]
	;; [unrolled: 1-line block ×3, first 2 shown]
	v_mul_f64 v[4:5], v[140:141], s[46:47]
	v_fma_f64 v[216:217], v[132:133], s[16:17], -v[196:197]
	v_fma_f64 v[22:23], v[128:129], s[22:23], v[4:5]
	v_fma_f64 v[4:5], v[128:129], s[22:23], -v[4:5]
	v_add_f64 v[202:203], v[216:217], v[202:203]
	v_fma_f64 v[216:217], v[167:168], s[36:37], -v[198:199]
	v_add_f64 v[181:182], v[22:23], v[181:182]
	v_fma_f64 v[22:23], v[171:172], s[36:37], -v[186:187]
	v_add_f64 v[177:178], v[4:5], v[177:178]
	v_add_f64 v[204:205], v[216:217], v[204:205]
	v_add_f64 v[20:21], v[22:23], v[20:21]
	v_fma_f64 v[22:23], v[157:158], s[28:29], v[190:191]
	v_add_f64 v[22:23], v[22:23], v[26:27]
	v_mul_f64 v[26:27], v[147:148], s[26:27]
	v_fma_f64 v[186:187], v[145:146], s[20:21], v[26:27]
	v_fma_f64 v[4:5], v[145:146], s[20:21], -v[26:27]
	v_add_f64 v[186:187], v[186:187], v[188:189]
	v_mul_f64 v[188:189], v[122:123], s[46:47]
	v_add_f64 v[4:5], v[4:5], v[20:21]
	v_fma_f64 v[20:21], v[132:133], s[16:17], v[196:197]
	v_fma_f64 v[190:191], v[120:121], s[22:23], -v[188:189]
	v_add_f64 v[20:21], v[20:21], v[22:23]
	v_mul_f64 v[22:23], v[143:144], s[44:45]
	v_add_f64 v[190:191], v[190:191], v[202:203]
	v_fma_f64 v[202:203], v[173:174], s[0:1], v[214:215]
	v_fma_f64 v[26:27], v[134:135], s[10:11], v[22:23]
	v_fma_f64 v[22:23], v[134:135], s[10:11], -v[22:23]
	v_add_f64 v[183:184], v[202:203], v[183:184]
	v_mul_f64 v[202:203], v[161:162], s[26:27]
	v_add_f64 v[26:27], v[26:27], v[186:187]
	v_fma_f64 v[186:187], v[167:168], s[36:37], v[198:199]
	v_add_f64 v[4:5], v[22:23], v[4:5]
	v_fma_f64 v[22:23], v[157:158], s[20:21], v[202:203]
	v_fma_f64 v[214:215], v[157:158], s[20:21], -v[202:203]
	v_add_f64 v[183:184], v[186:187], v[183:184]
	v_mul_f64 v[186:187], v[163:164], s[44:45]
	v_add_f64 v[204:205], v[214:215], v[204:205]
	v_add_f64 v[22:23], v[22:23], v[183:184]
	v_mul_f64 v[183:184], v[151:152], s[40:41]
	v_mul_f64 v[151:152], v[151:152], s[50:51]
	v_fma_f64 v[196:197], v[132:133], s[10:11], -v[186:187]
	v_fma_f64 v[198:199], v[159:160], s[34:35], -v[183:184]
	v_fma_f64 v[183:184], v[159:160], s[34:35], v[183:184]
	v_add_f64 v[196:197], v[196:197], v[204:205]
	v_add_f64 v[192:193], v[198:199], v[192:193]
	v_fma_f64 v[198:199], v[159:160], s[20:21], -v[151:152]
	v_fma_f64 v[151:152], v[159:160], s[20:21], v[151:152]
	v_mul_f64 v[159:160], v[153:154], s[40:41]
	v_add_f64 v[24:25], v[183:184], v[24:25]
	v_mul_f64 v[183:184], v[149:150], s[24:25]
	v_mul_f64 v[149:150], v[149:150], s[52:53]
	;; [unrolled: 1-line block ×3, first 2 shown]
	v_add_f64 v[102:103], v[151:152], v[102:103]
	v_fma_f64 v[202:203], v[165:166], s[34:35], v[159:160]
	v_fma_f64 v[159:160], v[165:166], s[34:35], -v[159:160]
	v_mul_f64 v[151:152], v[130:131], s[24:25]
	v_mul_f64 v[130:131], v[130:131], s[52:53]
	v_fma_f64 v[204:205], v[165:166], s[20:21], v[153:154]
	v_fma_f64 v[153:154], v[165:166], s[20:21], -v[153:154]
	v_add_f64 v[165:166], v[198:199], v[194:195]
	v_add_f64 v[198:199], v[202:203], v[208:209]
	;; [unrolled: 1-line block ×3, first 2 shown]
	v_fma_f64 v[200:201], v[175:176], s[22:23], -v[183:184]
	v_fma_f64 v[183:184], v[175:176], s[22:23], v[183:184]
	v_fma_f64 v[202:203], v[173:174], s[28:29], v[130:131]
	v_fma_f64 v[130:131], v[173:174], s[28:29], -v[130:131]
	v_add_f64 v[100:101], v[153:154], v[100:101]
	v_add_f64 v[194:195], v[204:205], v[206:207]
	;; [unrolled: 1-line block ×3, first 2 shown]
	v_fma_f64 v[200:201], v[175:176], s[28:29], -v[149:150]
	v_fma_f64 v[149:150], v[175:176], s[28:29], v[149:150]
	v_fma_f64 v[175:176], v[173:174], s[22:23], v[151:152]
	v_fma_f64 v[151:152], v[173:174], s[22:23], -v[151:152]
	v_add_f64 v[24:25], v[183:184], v[24:25]
	v_add_f64 v[100:101], v[130:131], v[100:101]
	;; [unrolled: 1-line block ×4, first 2 shown]
	v_mul_f64 v[149:150], v[169:170], s[2:3]
	v_add_f64 v[151:152], v[151:152], v[159:160]
	v_mul_f64 v[159:160], v[155:156], s[2:3]
	v_mul_f64 v[155:156], v[155:156], s[40:41]
	v_add_f64 v[173:174], v[175:176], v[198:199]
	v_mul_f64 v[169:170], v[169:170], s[40:41]
	v_add_f64 v[165:166], v[202:203], v[194:195]
	v_fma_f64 v[175:176], v[171:172], s[0:1], -v[159:160]
	v_fma_f64 v[183:184], v[171:172], s[34:35], -v[155:156]
	v_fma_f64 v[159:160], v[171:172], s[0:1], v[159:160]
	v_fma_f64 v[155:156], v[171:172], s[34:35], v[155:156]
	;; [unrolled: 1-line block ×3, first 2 shown]
	v_fma_f64 v[149:150], v[167:168], s[0:1], -v[149:150]
	v_add_f64 v[175:176], v[175:176], v[192:193]
	v_add_f64 v[130:131], v[183:184], v[153:154]
	v_mul_f64 v[153:154], v[147:148], s[54:55]
	v_mul_f64 v[147:148], v[147:148], s[38:39]
	v_fma_f64 v[192:193], v[167:168], s[34:35], v[169:170]
	v_fma_f64 v[167:168], v[167:168], s[34:35], -v[169:170]
	v_add_f64 v[171:172], v[171:172], v[173:174]
	v_mul_f64 v[173:174], v[161:162], s[38:39]
	v_mul_f64 v[161:162], v[161:162], s[54:55]
	v_add_f64 v[24:25], v[159:160], v[24:25]
	v_mul_f64 v[159:160], v[143:144], s[42:43]
	v_add_f64 v[149:150], v[149:150], v[151:152]
	v_add_f64 v[102:103], v[155:156], v[102:103]
	v_mul_f64 v[143:144], v[143:144], s[24:25]
	v_mul_f64 v[183:184], v[122:123], s[18:19]
	v_fma_f64 v[169:170], v[145:146], s[16:17], -v[153:154]
	v_fma_f64 v[151:152], v[145:146], s[36:37], -v[147:148]
	v_add_f64 v[165:166], v[192:193], v[165:166]
	v_fma_f64 v[153:154], v[145:146], s[16:17], v[153:154]
	v_fma_f64 v[145:146], v[145:146], s[36:37], v[147:148]
	;; [unrolled: 1-line block ×4, first 2 shown]
	v_fma_f64 v[161:162], v[157:158], s[16:17], -v[161:162]
	v_fma_f64 v[157:158], v[157:158], s[36:37], -v[173:174]
	;; [unrolled: 1-line block ×3, first 2 shown]
	v_add_f64 v[100:101], v[167:168], v[100:101]
	v_mul_f64 v[167:168], v[140:141], s[40:41]
	v_fma_f64 v[159:160], v[134:135], s[36:37], v[159:160]
	v_add_f64 v[169:170], v[169:170], v[175:176]
	v_mul_f64 v[175:176], v[163:164], s[24:25]
	v_mul_f64 v[163:164], v[163:164], s[42:43]
	v_add_f64 v[130:131], v[151:152], v[130:131]
	v_mul_f64 v[151:152], v[140:141], s[30:31]
	v_add_f64 v[147:148], v[147:148], v[165:166]
	v_add_f64 v[155:156], v[155:156], v[171:172]
	v_fma_f64 v[165:166], v[134:135], s[22:23], -v[143:144]
	v_add_f64 v[24:25], v[153:154], v[24:25]
	v_add_f64 v[149:150], v[161:162], v[149:150]
	v_fma_f64 v[161:162], v[132:133], s[10:11], v[186:187]
	v_fma_f64 v[134:135], v[134:135], s[22:23], v[143:144]
	v_add_f64 v[102:103], v[145:146], v[102:103]
	v_mul_f64 v[143:144], v[122:123], s[30:31]
	v_mul_f64 v[122:123], v[122:123], s[40:41]
	v_add_f64 v[100:101], v[157:158], v[100:101]
	v_mul_f64 v[140:141], v[140:141], s[18:19]
	v_mul_f64 v[157:158], v[138:139], s[24:25]
	;; [unrolled: 1-line block ×3, first 2 shown]
	v_add_f64 v[169:170], v[173:174], v[169:170]
	v_fma_f64 v[171:172], v[132:133], s[22:23], v[175:176]
	v_fma_f64 v[153:154], v[132:133], s[36:37], v[163:164]
	v_fma_f64 v[173:174], v[128:129], s[34:35], -v[167:168]
	v_fma_f64 v[145:146], v[132:133], s[36:37], -v[163:164]
	;; [unrolled: 1-line block ×4, first 2 shown]
	v_add_f64 v[130:131], v[165:166], v[130:131]
	v_fma_f64 v[165:166], v[120:121], s[22:23], v[188:189]
	v_add_f64 v[24:25], v[159:160], v[24:25]
	v_fma_f64 v[167:168], v[128:129], s[34:35], v[167:168]
	v_fma_f64 v[151:152], v[128:129], s[28:29], v[151:152]
	v_mul_f64 v[175:176], v[126:127], s[2:3]
	v_fma_f64 v[159:160], v[120:121], s[28:29], v[143:144]
	v_fma_f64 v[143:144], v[120:121], s[28:29], -v[143:144]
	v_add_f64 v[102:103], v[134:135], v[102:103]
	v_mul_f64 v[134:135], v[126:127], s[8:9]
	v_add_f64 v[22:23], v[161:162], v[22:23]
	v_mul_f64 v[161:162], v[126:127], s[26:27]
	v_mul_f64 v[126:127], v[126:127], s[24:25]
	v_fma_f64 v[194:195], v[124:125], s[16:17], v[186:187]
	v_add_f64 v[147:148], v[171:172], v[147:148]
	v_add_f64 v[153:154], v[153:154], v[155:156]
	;; [unrolled: 1-line block ×3, first 2 shown]
	v_fma_f64 v[173:174], v[120:121], s[16:17], v[183:184]
	v_add_f64 v[145:146], v[145:146], v[149:150]
	v_add_f64 v[149:150], v[163:164], v[169:170]
	v_fma_f64 v[163:164], v[120:121], s[34:35], v[122:123]
	v_fma_f64 v[122:123], v[120:121], s[34:35], -v[122:123]
	v_fma_f64 v[120:121], v[120:121], s[16:17], -v[183:184]
	v_add_f64 v[100:101], v[132:133], v[100:101]
	v_mul_f64 v[155:156], v[138:139], s[26:27]
	v_fma_f64 v[4:5], v[128:129], s[16:17], -v[140:141]
	v_fma_f64 v[128:129], v[128:129], s[16:17], v[140:141]
	v_mul_f64 v[140:141], v[138:139], s[18:19]
	v_mul_f64 v[169:170], v[138:139], s[8:9]
	;; [unrolled: 1-line block ×3, first 2 shown]
	v_fma_f64 v[192:193], v[124:125], s[0:1], v[175:176]
	v_add_f64 v[167:168], v[167:168], v[26:27]
	v_fma_f64 v[188:189], v[124:125], s[10:11], v[134:135]
	v_add_f64 v[165:166], v[165:166], v[20:21]
	v_add_f64 v[151:152], v[151:152], v[24:25]
	v_fma_f64 v[200:201], v[124:125], s[10:11], -v[134:135]
	v_fma_f64 v[175:176], v[124:125], s[0:1], -v[175:176]
	v_add_f64 v[153:154], v[159:160], v[153:154]
	v_add_f64 v[132:133], v[173:174], v[147:148]
	v_fma_f64 v[147:148], v[136:137], s[22:23], v[157:158]
	v_add_f64 v[143:144], v[143:144], v[145:146]
	v_add_f64 v[159:160], v[163:164], v[22:23]
	v_fma_f64 v[163:164], v[124:125], s[20:21], v[161:162]
	v_fma_f64 v[145:146], v[124:125], s[22:23], v[126:127]
	v_add_f64 v[202:203], v[120:121], v[100:101]
	v_add_f64 v[120:121], v[10:11], v[0:1]
	buffer_load_dword v1, off, s[60:63], 0 offset:4 ; 4-byte Folded Reload
	v_add_f64 v[130:131], v[4:5], v[130:131]
	v_fma_f64 v[20:21], v[136:137], s[16:17], -v[140:141]
	v_fma_f64 v[26:27], v[136:137], s[10:11], -v[169:170]
	;; [unrolled: 1-line block ×4, first 2 shown]
	v_fma_f64 v[157:158], v[136:137], s[20:21], v[155:156]
	v_fma_f64 v[155:156], v[136:137], s[20:21], -v[155:156]
	v_add_f64 v[183:184], v[122:123], v[196:197]
	v_fma_f64 v[196:197], v[124:125], s[22:23], -v[126:127]
	v_fma_f64 v[161:162], v[124:125], s[20:21], -v[161:162]
	v_fma_f64 v[140:141], v[136:137], s[16:17], v[140:141]
	v_fma_f64 v[169:170], v[136:137], s[10:11], v[169:170]
	;; [unrolled: 1-line block ×3, first 2 shown]
	v_fma_f64 v[136:137], v[124:125], s[16:17], -v[186:187]
	v_add_f64 v[186:187], v[128:129], v[102:103]
	v_add_f64 v[122:123], v[6:7], v[2:3]
	;; [unrolled: 1-line block ×7, first 2 shown]
	v_mov_b32_e32 v0, 4
	v_add_f64 v[22:23], v[20:21], v[171:172]
	v_add_f64 v[26:27], v[26:27], v[149:150]
	;; [unrolled: 1-line block ×15, first 2 shown]
	s_waitcnt vmcnt(0)
	v_lshlrev_b32_sdwa v0, v0, v1 dst_sel:DWORD dst_unused:UNUSED_PAD src0_sel:DWORD src1_sel:WORD_0
	ds_write_b128 v0, v[120:123]
	ds_write_b128 v0, v[100:103] offset:16
	ds_write_b128 v0, v[24:27] offset:32
	;; [unrolled: 1-line block ×16, first 2 shown]
.LBB0_13:
	s_or_b32 exec_lo, exec_lo, s33
	s_waitcnt lgkmcnt(0)
	s_barrier
	buffer_gl0_inv
	ds_read_b128 v[0:3], v255 offset:8160
	ds_read_b128 v[4:7], v255 offset:13600
	;; [unrolled: 1-line block ×9, first 2 shown]
	ds_read_b128 v[108:111], v255
	s_mov_b32 s8, 0x134454ff
	s_mov_b32 s9, 0xbfee6f0e
	;; [unrolled: 1-line block ×10, first 2 shown]
	s_waitcnt lgkmcnt(9)
	v_mul_f64 v[112:113], v[34:35], v[0:1]
	s_waitcnt lgkmcnt(8)
	v_mul_f64 v[114:115], v[42:43], v[4:5]
	;; [unrolled: 2-line block ×5, first 2 shown]
	v_mul_f64 v[34:35], v[34:35], v[2:3]
	v_mul_f64 v[42:43], v[42:43], v[6:7]
	v_mul_f64 v[38:39], v[38:39], v[10:11]
	v_mul_f64 v[46:47], v[46:47], v[14:15]
	s_waitcnt lgkmcnt(4)
	v_mul_f64 v[122:123], v[62:63], v[22:23]
	v_mul_f64 v[62:63], v[62:63], v[20:21]
	s_waitcnt lgkmcnt(3)
	v_mul_f64 v[124:125], v[58:59], v[26:27]
	v_mul_f64 v[58:59], v[58:59], v[24:25]
	s_waitcnt lgkmcnt(2)
	v_mul_f64 v[126:127], v[54:55], v[102:103]
	s_waitcnt lgkmcnt(1)
	v_mul_f64 v[128:129], v[50:51], v[104:105]
	v_mul_f64 v[54:55], v[54:55], v[100:101]
	;; [unrolled: 1-line block ×4, first 2 shown]
	s_mov_b32 s18, 0x9b97f4a8
	s_mov_b32 s19, 0x3fe9e377
	;; [unrolled: 1-line block ×4, first 2 shown]
	v_fma_f64 v[2:3], v[32:33], v[2:3], -v[112:113]
	v_fma_f64 v[6:7], v[40:41], v[6:7], -v[114:115]
	;; [unrolled: 1-line block ×5, first 2 shown]
	v_fma_f64 v[0:1], v[32:33], v[0:1], v[34:35]
	v_fma_f64 v[4:5], v[40:41], v[4:5], v[42:43]
	;; [unrolled: 1-line block ×5, first 2 shown]
	v_fma_f64 v[22:23], v[60:61], v[22:23], -v[62:63]
	v_fma_f64 v[24:25], v[56:57], v[24:25], v[124:125]
	v_fma_f64 v[26:27], v[56:57], v[26:27], -v[58:59]
	v_fma_f64 v[32:33], v[52:53], v[100:101], v[126:127]
	v_fma_f64 v[34:35], v[48:49], v[106:107], -v[128:129]
	v_fma_f64 v[52:53], v[52:53], v[102:103], -v[54:55]
	v_fma_f64 v[40:41], v[48:49], v[104:105], v[50:51]
	v_fma_f64 v[16:17], v[28:29], v[16:17], v[30:31]
	s_mov_b32 s23, 0xbfe9e377
	s_mov_b32 s22, s18
	s_waitcnt lgkmcnt(0)
	s_barrier
	buffer_gl0_inv
	v_add_f64 v[120:121], v[2:3], -v[6:7]
	v_add_f64 v[36:37], v[6:7], v[10:11]
	v_add_f64 v[38:39], v[2:3], v[14:15]
	v_add_f64 v[118:119], v[2:3], -v[14:15]
	v_add_f64 v[122:123], v[14:15], -v[10:11]
	;; [unrolled: 1-line block ×3, first 2 shown]
	v_add_f64 v[50:51], v[4:5], v[8:9]
	v_add_f64 v[54:55], v[0:1], v[12:13]
	v_add_f64 v[56:57], v[0:1], -v[12:13]
	v_add_f64 v[58:59], v[4:5], -v[8:9]
	v_add_f64 v[28:29], v[108:109], v[20:21]
	v_add_f64 v[46:47], v[20:21], -v[24:25]
	v_add_f64 v[30:31], v[24:25], v[32:33]
	v_add_f64 v[116:117], v[22:23], v[34:35]
	;; [unrolled: 1-line block ×3, first 2 shown]
	v_add_f64 v[48:49], v[40:41], -v[32:33]
	v_add_f64 v[60:61], v[20:21], v[40:41]
	v_add_f64 v[124:125], v[6:7], -v[2:3]
	v_add_f64 v[126:127], v[10:11], -v[14:15]
	v_add_f64 v[102:103], v[110:111], v[22:23]
	v_add_f64 v[2:3], v[18:19], v[2:3]
	v_add_f64 v[42:43], v[22:23], -v[34:35]
	v_add_f64 v[44:45], v[26:27], -v[52:53]
	v_fma_f64 v[36:37], v[36:37], -0.5, v[18:19]
	v_fma_f64 v[38:39], v[38:39], -0.5, v[18:19]
	v_add_f64 v[62:63], v[24:25], -v[20:21]
	v_add_f64 v[100:101], v[32:33], -v[40:41]
	;; [unrolled: 1-line block ×3, first 2 shown]
	v_fma_f64 v[50:51], v[50:51], -0.5, v[16:17]
	v_fma_f64 v[54:55], v[54:55], -0.5, v[16:17]
	v_add_f64 v[16:17], v[16:17], v[0:1]
	v_add_f64 v[106:107], v[24:25], -v[32:33]
	v_add_f64 v[136:137], v[0:1], -v[4:5]
	;; [unrolled: 1-line block ×3, first 2 shown]
	v_fma_f64 v[18:19], v[30:31], -0.5, v[108:109]
	v_add_f64 v[24:25], v[28:29], v[24:25]
	v_add_f64 v[0:1], v[4:5], -v[0:1]
	v_add_f64 v[30:31], v[46:47], v[48:49]
	v_fma_f64 v[28:29], v[60:61], -0.5, v[108:109]
	v_fma_f64 v[46:47], v[104:105], -0.5, v[110:111]
	;; [unrolled: 1-line block ×3, first 2 shown]
	v_add_f64 v[60:61], v[120:121], v[122:123]
	v_add_f64 v[140:141], v[8:9], -v[12:13]
	v_add_f64 v[104:105], v[124:125], v[126:127]
	v_add_f64 v[112:113], v[22:23], -v[26:27]
	v_fma_f64 v[132:133], v[56:57], s[2:3], v[36:37]
	v_fma_f64 v[134:135], v[58:59], s[8:9], v[38:39]
	;; [unrolled: 1-line block ×4, first 2 shown]
	v_add_f64 v[22:23], v[26:27], -v[22:23]
	v_fma_f64 v[108:109], v[118:119], s[8:9], v[50:51]
	v_fma_f64 v[110:111], v[128:129], s[2:3], v[54:55]
	;; [unrolled: 1-line block ×4, first 2 shown]
	v_add_f64 v[26:27], v[102:103], v[26:27]
	v_add_f64 v[4:5], v[16:17], v[4:5]
	v_add_f64 v[2:3], v[2:3], v[6:7]
	v_add_f64 v[114:115], v[34:35], -v[52:53]
	v_add_f64 v[16:17], v[136:137], v[138:139]
	v_fma_f64 v[6:7], v[42:43], s[8:9], v[18:19]
	v_fma_f64 v[18:19], v[42:43], s[2:3], v[18:19]
	v_add_f64 v[130:131], v[52:53], -v[34:35]
	v_add_f64 v[24:25], v[24:25], v[32:33]
	v_add_f64 v[0:1], v[0:1], v[140:141]
	v_fma_f64 v[116:117], v[58:59], s[16:17], v[132:133]
	v_fma_f64 v[120:121], v[56:57], s[16:17], v[134:135]
	;; [unrolled: 1-line block ×4, first 2 shown]
	v_add_f64 v[56:57], v[62:63], v[100:101]
	v_fma_f64 v[58:59], v[44:45], s[2:3], v[28:29]
	v_fma_f64 v[28:29], v[44:45], s[8:9], v[28:29]
	;; [unrolled: 1-line block ×10, first 2 shown]
	v_add_f64 v[26:27], v[26:27], v[52:53]
	v_add_f64 v[4:5], v[4:5], v[8:9]
	;; [unrolled: 1-line block ×3, first 2 shown]
	v_fma_f64 v[6:7], v[44:45], s[10:11], v[6:7]
	v_fma_f64 v[8:9], v[44:45], s[16:17], v[18:19]
	v_add_f64 v[22:23], v[22:23], v[130:131]
	v_add_f64 v[24:25], v[24:25], v[40:41]
	v_fma_f64 v[110:111], v[60:61], s[0:1], v[116:117]
	v_fma_f64 v[116:117], v[104:105], s[0:1], v[120:121]
	;; [unrolled: 1-line block ×4, first 2 shown]
	v_add_f64 v[60:61], v[112:113], v[114:115]
	v_fma_f64 v[10:11], v[42:43], s[10:11], v[58:59]
	v_fma_f64 v[18:19], v[42:43], s[16:17], v[28:29]
	;; [unrolled: 1-line block ×10, first 2 shown]
	v_add_f64 v[26:27], v[26:27], v[34:35]
	v_add_f64 v[4:5], v[4:5], v[12:13]
	;; [unrolled: 1-line block ×3, first 2 shown]
	v_fma_f64 v[34:35], v[30:31], s[0:1], v[6:7]
	v_fma_f64 v[30:31], v[30:31], s[0:1], v[8:9]
	v_mul_f64 v[48:49], v[110:111], s[10:11]
	v_mul_f64 v[58:59], v[110:111], s[18:19]
	;; [unrolled: 1-line block ×8, first 2 shown]
	v_fma_f64 v[100:101], v[60:61], s[0:1], v[28:29]
	v_fma_f64 v[40:41], v[56:57], s[0:1], v[10:11]
	;; [unrolled: 1-line block ×6, first 2 shown]
	v_add_f64 v[2:3], v[26:27], v[12:13]
	v_add_f64 v[6:7], v[26:27], -v[12:13]
	v_fma_f64 v[28:29], v[44:45], s[18:19], v[48:49]
	v_fma_f64 v[44:45], v[44:45], s[16:17], v[58:59]
	v_fma_f64 v[32:33], v[46:47], s[0:1], v[50:51]
	v_fma_f64 v[46:47], v[46:47], s[2:3], v[62:63]
	v_fma_f64 v[48:49], v[0:1], s[20:21], v[52:53]
	v_fma_f64 v[38:39], v[0:1], s[2:3], v[38:39]
	v_fma_f64 v[50:51], v[16:17], s[22:23], v[54:55]
	v_fma_f64 v[52:53], v[16:17], s[16:17], v[36:37]
	v_add_f64 v[0:1], v[24:25], v[4:5]
	v_add_f64 v[4:5], v[24:25], -v[4:5]
	v_add_f64 v[8:9], v[34:35], v[28:29]
	v_add_f64 v[10:11], v[100:101], v[44:45]
	;; [unrolled: 1-line block ×8, first 2 shown]
	v_add_f64 v[24:25], v[34:35], -v[28:29]
	v_add_f64 v[26:27], v[100:101], -v[44:45]
	;; [unrolled: 1-line block ×8, first 2 shown]
	ds_write_b128 v185, v[0:3]
	ds_write_b128 v185, v[4:7] offset:1360
	ds_write_b128 v185, v[8:11] offset:272
	;; [unrolled: 1-line block ×9, first 2 shown]
	s_waitcnt lgkmcnt(0)
	s_barrier
	buffer_gl0_inv
	ds_read_b128 v[0:3], v255 offset:8160
	ds_read_b128 v[4:7], v255 offset:13600
	;; [unrolled: 1-line block ×9, first 2 shown]
	s_waitcnt lgkmcnt(8)
	v_mul_f64 v[36:37], v[74:75], v[0:1]
	s_waitcnt lgkmcnt(7)
	v_mul_f64 v[38:39], v[70:71], v[4:5]
	s_waitcnt lgkmcnt(6)
	v_mul_f64 v[40:41], v[78:79], v[8:9]
	s_waitcnt lgkmcnt(5)
	v_mul_f64 v[42:43], v[82:83], v[12:13]
	s_waitcnt lgkmcnt(4)
	v_mul_f64 v[44:45], v[66:67], v[16:17]
	v_mul_f64 v[50:51], v[74:75], v[2:3]
	v_mul_f64 v[62:63], v[70:71], v[6:7]
	;; [unrolled: 1-line block ×4, first 2 shown]
	s_waitcnt lgkmcnt(3)
	v_mul_f64 v[46:47], v[98:99], v[22:23]
	v_mul_f64 v[48:49], v[98:99], v[20:21]
	s_waitcnt lgkmcnt(2)
	v_mul_f64 v[52:53], v[94:95], v[26:27]
	v_mul_f64 v[54:55], v[94:95], v[24:25]
	s_waitcnt lgkmcnt(1)
	v_mul_f64 v[56:57], v[90:91], v[30:31]
	s_waitcnt lgkmcnt(0)
	v_mul_f64 v[58:59], v[86:87], v[32:33]
	v_mul_f64 v[60:61], v[90:91], v[28:29]
	;; [unrolled: 1-line block ×3, first 2 shown]
	v_fma_f64 v[2:3], v[72:73], v[2:3], -v[36:37]
	v_fma_f64 v[6:7], v[68:69], v[6:7], -v[38:39]
	;; [unrolled: 1-line block ×4, first 2 shown]
	v_mul_f64 v[40:41], v[66:67], v[18:19]
	v_fma_f64 v[0:1], v[72:73], v[0:1], v[50:51]
	v_fma_f64 v[4:5], v[68:69], v[4:5], v[62:63]
	;; [unrolled: 1-line block ×4, first 2 shown]
	v_fma_f64 v[18:19], v[64:65], v[18:19], -v[44:45]
	v_fma_f64 v[20:21], v[96:97], v[20:21], v[46:47]
	v_fma_f64 v[22:23], v[96:97], v[22:23], -v[48:49]
	v_fma_f64 v[24:25], v[92:93], v[24:25], v[52:53]
	;; [unrolled: 2-line block ×3, first 2 shown]
	v_fma_f64 v[34:35], v[84:85], v[34:35], -v[58:59]
	v_fma_f64 v[30:31], v[88:89], v[30:31], -v[60:61]
	v_fma_f64 v[32:33], v[84:85], v[32:33], v[70:71]
	ds_read_b128 v[36:39], v255
	v_add_f64 v[84:85], v[2:3], -v[6:7]
	v_add_f64 v[42:43], v[6:7], v[10:11]
	v_add_f64 v[44:45], v[2:3], v[14:15]
	v_fma_f64 v[16:17], v[64:65], v[16:17], v[40:41]
	v_add_f64 v[82:83], v[2:3], -v[14:15]
	v_add_f64 v[86:87], v[14:15], -v[10:11]
	v_add_f64 v[56:57], v[4:5], v[8:9]
	v_add_f64 v[58:59], v[0:1], v[12:13]
	v_add_f64 v[60:61], v[0:1], -v[12:13]
	v_add_f64 v[62:63], v[4:5], -v[8:9]
	;; [unrolled: 1-line block ×5, first 2 shown]
	v_add_f64 v[46:47], v[24:25], v[28:29]
	v_add_f64 v[80:81], v[22:23], v[34:35]
	s_waitcnt lgkmcnt(0)
	v_add_f64 v[40:41], v[36:37], v[20:21]
	v_add_f64 v[54:55], v[32:33], -v[28:29]
	v_add_f64 v[64:65], v[20:21], v[32:33]
	v_add_f64 v[72:73], v[26:27], v[30:31]
	v_add_f64 v[90:91], v[10:11], -v[14:15]
	v_add_f64 v[70:71], v[38:39], v[22:23]
	v_add_f64 v[2:3], v[18:19], v[2:3]
	v_add_f64 v[48:49], v[22:23], -v[34:35]
	v_fma_f64 v[42:43], v[42:43], -0.5, v[18:19]
	v_fma_f64 v[44:45], v[44:45], -0.5, v[18:19]
	v_add_f64 v[50:51], v[26:27], -v[30:31]
	v_add_f64 v[66:67], v[24:25], -v[20:21]
	;; [unrolled: 1-line block ×3, first 2 shown]
	v_fma_f64 v[56:57], v[56:57], -0.5, v[16:17]
	v_fma_f64 v[58:59], v[58:59], -0.5, v[16:17]
	v_add_f64 v[16:17], v[16:17], v[0:1]
	v_add_f64 v[20:21], v[20:21], -v[32:33]
	v_add_f64 v[74:75], v[24:25], -v[28:29]
	;; [unrolled: 1-line block ×6, first 2 shown]
	v_fma_f64 v[18:19], v[46:47], -0.5, v[36:37]
	v_add_f64 v[24:25], v[40:41], v[24:25]
	v_fma_f64 v[36:37], v[64:65], -0.5, v[36:37]
	v_add_f64 v[40:41], v[52:53], v[54:55]
	v_fma_f64 v[46:47], v[72:73], -0.5, v[38:39]
	v_fma_f64 v[38:39], v[80:81], -0.5, v[38:39]
	v_add_f64 v[52:53], v[84:85], v[86:87]
	v_add_f64 v[54:55], v[88:89], v[90:91]
	v_fma_f64 v[96:97], v[60:61], s[2:3], v[42:43]
	v_fma_f64 v[98:99], v[62:63], s[8:9], v[44:45]
	;; [unrolled: 1-line block ×4, first 2 shown]
	v_add_f64 v[76:77], v[22:23], -v[26:27]
	v_fma_f64 v[64:65], v[82:83], s[8:9], v[56:57]
	v_fma_f64 v[72:73], v[92:93], s[2:3], v[58:59]
	;; [unrolled: 1-line block ×4, first 2 shown]
	v_add_f64 v[22:23], v[26:27], -v[22:23]
	v_add_f64 v[26:27], v[70:71], v[26:27]
	v_add_f64 v[4:5], v[16:17], v[4:5]
	;; [unrolled: 1-line block ×3, first 2 shown]
	v_add_f64 v[78:79], v[34:35], -v[30:31]
	v_add_f64 v[16:17], v[100:101], v[102:103]
	v_add_f64 v[0:1], v[0:1], v[104:105]
	v_fma_f64 v[6:7], v[48:49], s[8:9], v[18:19]
	v_fma_f64 v[18:19], v[48:49], s[2:3], v[18:19]
	v_add_f64 v[94:95], v[30:31], -v[34:35]
	v_add_f64 v[24:25], v[24:25], v[28:29]
	v_fma_f64 v[80:81], v[62:63], s[16:17], v[96:97]
	v_fma_f64 v[84:85], v[60:61], s[16:17], v[98:99]
	;; [unrolled: 1-line block ×4, first 2 shown]
	v_add_f64 v[60:61], v[66:67], v[68:69]
	v_fma_f64 v[62:63], v[50:51], s[2:3], v[36:37]
	v_fma_f64 v[36:37], v[50:51], s[8:9], v[36:37]
	;; [unrolled: 1-line block ×10, first 2 shown]
	v_add_f64 v[26:27], v[26:27], v[30:31]
	v_add_f64 v[4:5], v[4:5], v[8:9]
	;; [unrolled: 1-line block ×3, first 2 shown]
	v_fma_f64 v[6:7], v[50:51], s[10:11], v[6:7]
	v_fma_f64 v[8:9], v[50:51], s[16:17], v[18:19]
	v_add_f64 v[22:23], v[22:23], v[94:95]
	v_add_f64 v[24:25], v[24:25], v[32:33]
	v_fma_f64 v[72:73], v[52:53], s[0:1], v[80:81]
	v_fma_f64 v[80:81], v[54:55], s[0:1], v[84:85]
	;; [unrolled: 1-line block ×4, first 2 shown]
	v_add_f64 v[52:53], v[76:77], v[78:79]
	v_fma_f64 v[10:11], v[48:49], s[10:11], v[62:63]
	v_fma_f64 v[18:19], v[48:49], s[16:17], v[36:37]
	;; [unrolled: 1-line block ×10, first 2 shown]
	v_add_f64 v[26:27], v[26:27], v[34:35]
	v_add_f64 v[4:5], v[4:5], v[12:13]
	;; [unrolled: 1-line block ×3, first 2 shown]
	v_fma_f64 v[32:33], v[40:41], s[0:1], v[6:7]
	v_fma_f64 v[34:35], v[40:41], s[0:1], v[8:9]
	v_mul_f64 v[48:49], v[72:73], s[10:11]
	v_mul_f64 v[58:59], v[72:73], s[18:19]
	;; [unrolled: 1-line block ×8, first 2 shown]
	v_fma_f64 v[64:65], v[52:53], s[0:1], v[28:29]
	v_fma_f64 v[40:41], v[60:61], s[0:1], v[10:11]
	;; [unrolled: 1-line block ×6, first 2 shown]
	v_add_f64 v[2:3], v[26:27], v[12:13]
	v_add_f64 v[6:7], v[26:27], -v[12:13]
	v_fma_f64 v[28:29], v[38:39], s[18:19], v[48:49]
	v_fma_f64 v[38:39], v[38:39], s[16:17], v[58:59]
	;; [unrolled: 1-line block ×8, first 2 shown]
	v_add_f64 v[0:1], v[24:25], v[4:5]
	v_add_f64 v[4:5], v[24:25], -v[4:5]
	v_add_f64 v[8:9], v[32:33], v[28:29]
	v_add_f64 v[10:11], v[64:65], v[38:39]
	;; [unrolled: 1-line block ×8, first 2 shown]
	v_add_f64 v[24:25], v[32:33], -v[28:29]
	v_add_f64 v[26:27], v[64:65], -v[38:39]
	;; [unrolled: 1-line block ×8, first 2 shown]
	ds_write_b128 v255, v[0:3]
	ds_write_b128 v255, v[4:7] offset:13600
	ds_write_b128 v255, v[8:11] offset:2720
	;; [unrolled: 1-line block ×9, first 2 shown]
	s_waitcnt lgkmcnt(0)
	s_barrier
	buffer_gl0_inv
	s_and_b32 exec_lo, exec_lo, vcc_lo
	s_cbranch_execz .LBB0_15
; %bb.14:
	global_load_dwordx4 v[0:3], v255, s[12:13]
	ds_read_b128 v[4:7], v255
	ds_read_b128 v[8:11], v255 offset:1600
	ds_read_b128 v[12:15], v255 offset:25600
	buffer_load_dword v20, off, s[60:63], 0 ; 4-byte Folded Reload
	v_mad_u64_u32 v[18:19], null, s6, v142, 0
	s_mov_b32 s0, 0xace01346
	s_mov_b32 s1, 0x3f434679
	v_add_co_u32 v22, s2, s12, v255
	v_add_co_ci_u32_e64 v23, null, s13, 0, s2
	s_mul_i32 s2, s5, 0x640
	s_mul_i32 s3, s4, 0x640
	s_waitcnt vmcnt(1) lgkmcnt(2)
	v_mul_f64 v[16:17], v[6:7], v[2:3]
	v_mul_f64 v[2:3], v[4:5], v[2:3]
	v_fma_f64 v[4:5], v[4:5], v[0:1], v[16:17]
	v_fma_f64 v[2:3], v[0:1], v[6:7], -v[2:3]
	s_waitcnt vmcnt(0)
	v_mad_u64_u32 v[6:7], null, s4, v20, 0
	v_mov_b32_e32 v0, v19
	v_mov_b32_e32 v1, v7
	v_mad_u64_u32 v[16:17], null, s7, v142, v[0:1]
	v_mov_b32_e32 v19, v16
	v_mad_u64_u32 v[20:21], null, s5, v20, v[1:2]
	v_mul_f64 v[0:1], v[4:5], s[0:1]
	v_mul_f64 v[2:3], v[2:3], s[0:1]
	v_lshlrev_b64 v[4:5], 4, v[18:19]
	s_mul_hi_u32 s5, s4, 0x640
	s_add_i32 s2, s5, s2
	v_mov_b32_e32 v7, v20
	v_add_co_u32 v4, vcc_lo, s14, v4
	v_add_co_ci_u32_e32 v5, vcc_lo, s15, v5, vcc_lo
	v_lshlrev_b64 v[6:7], 4, v[6:7]
	v_add_co_u32 v4, vcc_lo, v4, v6
	v_add_co_ci_u32_e32 v5, vcc_lo, v5, v7, vcc_lo
	v_add_co_u32 v16, vcc_lo, v4, s3
	global_store_dwordx4 v[4:5], v[0:3], off
	global_load_dwordx4 v[0:3], v255, s[12:13] offset:1600
	v_add_co_ci_u32_e32 v17, vcc_lo, s2, v5, vcc_lo
	v_add_co_u32 v4, vcc_lo, 0x800, v22
	v_add_co_ci_u32_e32 v5, vcc_lo, 0, v23, vcc_lo
	s_waitcnt vmcnt(0) lgkmcnt(1)
	v_mul_f64 v[6:7], v[10:11], v[2:3]
	v_mul_f64 v[2:3], v[8:9], v[2:3]
	v_fma_f64 v[6:7], v[8:9], v[0:1], v[6:7]
	v_fma_f64 v[2:3], v[0:1], v[10:11], -v[2:3]
	v_mul_f64 v[0:1], v[6:7], s[0:1]
	v_mul_f64 v[2:3], v[2:3], s[0:1]
	global_store_dwordx4 v[16:17], v[0:3], off
	global_load_dwordx4 v[0:3], v[4:5], off offset:1152
	ds_read_b128 v[4:7], v255 offset:3200
	ds_read_b128 v[8:11], v255 offset:4800
	s_waitcnt vmcnt(0) lgkmcnt(1)
	v_mul_f64 v[18:19], v[6:7], v[2:3]
	v_mul_f64 v[2:3], v[4:5], v[2:3]
	v_fma_f64 v[4:5], v[4:5], v[0:1], v[18:19]
	v_fma_f64 v[2:3], v[0:1], v[6:7], -v[2:3]
	v_mul_f64 v[0:1], v[4:5], s[0:1]
	v_mul_f64 v[2:3], v[2:3], s[0:1]
	v_add_co_u32 v4, vcc_lo, v16, s3
	v_add_co_ci_u32_e32 v5, vcc_lo, s2, v17, vcc_lo
	v_add_co_u32 v6, vcc_lo, 0x1000, v22
	v_add_co_ci_u32_e32 v7, vcc_lo, 0, v23, vcc_lo
	;; [unrolled: 2-line block ×4, first 2 shown]
	global_store_dwordx4 v[4:5], v[0:3], off
	global_load_dwordx4 v[0:3], v[6:7], off offset:704
	s_waitcnt vmcnt(0) lgkmcnt(0)
	v_mul_f64 v[6:7], v[10:11], v[2:3]
	v_mul_f64 v[2:3], v[8:9], v[2:3]
	v_fma_f64 v[6:7], v[8:9], v[0:1], v[6:7]
	v_fma_f64 v[2:3], v[0:1], v[10:11], -v[2:3]
	v_mul_f64 v[0:1], v[6:7], s[0:1]
	v_mul_f64 v[2:3], v[2:3], s[0:1]
	global_store_dwordx4 v[16:17], v[0:3], off
	global_load_dwordx4 v[0:3], v[18:19], off offset:256
	ds_read_b128 v[4:7], v255 offset:6400
	ds_read_b128 v[8:11], v255 offset:8000
	s_waitcnt vmcnt(0) lgkmcnt(1)
	v_mul_f64 v[20:21], v[6:7], v[2:3]
	v_mul_f64 v[2:3], v[4:5], v[2:3]
	v_fma_f64 v[4:5], v[4:5], v[0:1], v[20:21]
	v_fma_f64 v[2:3], v[0:1], v[6:7], -v[2:3]
	v_mul_f64 v[0:1], v[4:5], s[0:1]
	v_mul_f64 v[2:3], v[2:3], s[0:1]
	v_add_co_u32 v4, vcc_lo, v16, s3
	v_add_co_ci_u32_e32 v5, vcc_lo, s2, v17, vcc_lo
	v_add_co_u32 v16, vcc_lo, v4, s3
	v_add_co_ci_u32_e32 v17, vcc_lo, s2, v5, vcc_lo
	global_store_dwordx4 v[4:5], v[0:3], off
	global_load_dwordx4 v[0:3], v[18:19], off offset:1856
	v_add_co_u32 v4, vcc_lo, 0x2000, v22
	v_add_co_ci_u32_e32 v5, vcc_lo, 0, v23, vcc_lo
	s_waitcnt vmcnt(0) lgkmcnt(0)
	v_mul_f64 v[6:7], v[10:11], v[2:3]
	v_mul_f64 v[2:3], v[8:9], v[2:3]
	v_fma_f64 v[6:7], v[8:9], v[0:1], v[6:7]
	v_fma_f64 v[2:3], v[0:1], v[10:11], -v[2:3]
	v_mul_f64 v[0:1], v[6:7], s[0:1]
	v_mul_f64 v[2:3], v[2:3], s[0:1]
	global_store_dwordx4 v[16:17], v[0:3], off
	global_load_dwordx4 v[0:3], v[4:5], off offset:1408
	ds_read_b128 v[4:7], v255 offset:9600
	ds_read_b128 v[8:11], v255 offset:11200
	s_waitcnt vmcnt(0) lgkmcnt(1)
	v_mul_f64 v[18:19], v[6:7], v[2:3]
	v_mul_f64 v[2:3], v[4:5], v[2:3]
	v_fma_f64 v[4:5], v[4:5], v[0:1], v[18:19]
	v_fma_f64 v[2:3], v[0:1], v[6:7], -v[2:3]
	v_mul_f64 v[0:1], v[4:5], s[0:1]
	v_mul_f64 v[2:3], v[2:3], s[0:1]
	v_add_co_u32 v4, vcc_lo, v16, s3
	v_add_co_ci_u32_e32 v5, vcc_lo, s2, v17, vcc_lo
	v_add_co_u32 v6, vcc_lo, 0x2800, v22
	v_add_co_ci_u32_e32 v7, vcc_lo, 0, v23, vcc_lo
	;; [unrolled: 2-line block ×3, first 2 shown]
	global_store_dwordx4 v[4:5], v[0:3], off
	global_load_dwordx4 v[0:3], v[6:7], off offset:960
	v_add_co_u32 v4, vcc_lo, 0x3000, v22
	v_add_co_ci_u32_e32 v5, vcc_lo, 0, v23, vcc_lo
	s_waitcnt vmcnt(0) lgkmcnt(0)
	v_mul_f64 v[6:7], v[10:11], v[2:3]
	v_mul_f64 v[2:3], v[8:9], v[2:3]
	v_fma_f64 v[6:7], v[8:9], v[0:1], v[6:7]
	v_fma_f64 v[2:3], v[0:1], v[10:11], -v[2:3]
	v_mul_f64 v[0:1], v[6:7], s[0:1]
	v_mul_f64 v[2:3], v[2:3], s[0:1]
	global_store_dwordx4 v[16:17], v[0:3], off
	global_load_dwordx4 v[0:3], v[4:5], off offset:512
	ds_read_b128 v[4:7], v255 offset:12800
	ds_read_b128 v[8:11], v255 offset:14400
	s_waitcnt vmcnt(0) lgkmcnt(1)
	v_mul_f64 v[18:19], v[6:7], v[2:3]
	v_mul_f64 v[2:3], v[4:5], v[2:3]
	v_fma_f64 v[4:5], v[4:5], v[0:1], v[18:19]
	v_fma_f64 v[2:3], v[0:1], v[6:7], -v[2:3]
	v_mul_f64 v[0:1], v[4:5], s[0:1]
	v_mul_f64 v[2:3], v[2:3], s[0:1]
	v_add_co_u32 v4, vcc_lo, v16, s3
	v_add_co_ci_u32_e32 v5, vcc_lo, s2, v17, vcc_lo
	v_add_co_u32 v6, vcc_lo, 0x3800, v22
	v_add_co_ci_u32_e32 v7, vcc_lo, 0, v23, vcc_lo
	global_store_dwordx4 v[4:5], v[0:3], off
	global_load_dwordx4 v[0:3], v[6:7], off offset:64
	s_waitcnt vmcnt(0) lgkmcnt(0)
	v_mul_f64 v[16:17], v[10:11], v[2:3]
	v_mul_f64 v[2:3], v[8:9], v[2:3]
	v_fma_f64 v[8:9], v[8:9], v[0:1], v[16:17]
	v_fma_f64 v[2:3], v[0:1], v[10:11], -v[2:3]
	v_add_co_u32 v16, vcc_lo, v4, s3
	v_add_co_ci_u32_e32 v17, vcc_lo, s2, v5, vcc_lo
	v_mul_f64 v[0:1], v[8:9], s[0:1]
	v_mul_f64 v[2:3], v[2:3], s[0:1]
	global_store_dwordx4 v[16:17], v[0:3], off
	global_load_dwordx4 v[0:3], v[6:7], off offset:1664
	ds_read_b128 v[4:7], v255 offset:16000
	ds_read_b128 v[8:11], v255 offset:17600
	s_waitcnt vmcnt(0) lgkmcnt(1)
	v_mul_f64 v[18:19], v[6:7], v[2:3]
	v_mul_f64 v[2:3], v[4:5], v[2:3]
	v_fma_f64 v[4:5], v[4:5], v[0:1], v[18:19]
	v_fma_f64 v[2:3], v[0:1], v[6:7], -v[2:3]
	v_mul_f64 v[0:1], v[4:5], s[0:1]
	v_mul_f64 v[2:3], v[2:3], s[0:1]
	v_add_co_u32 v4, vcc_lo, v16, s3
	v_add_co_ci_u32_e32 v5, vcc_lo, s2, v17, vcc_lo
	v_add_co_u32 v6, vcc_lo, 0x4000, v22
	v_add_co_ci_u32_e32 v7, vcc_lo, 0, v23, vcc_lo
	;; [unrolled: 2-line block ×3, first 2 shown]
	global_store_dwordx4 v[4:5], v[0:3], off
	global_load_dwordx4 v[0:3], v[6:7], off offset:1216
	v_add_co_u32 v4, vcc_lo, 0x4800, v22
	v_add_co_ci_u32_e32 v5, vcc_lo, 0, v23, vcc_lo
	s_waitcnt vmcnt(0) lgkmcnt(0)
	v_mul_f64 v[6:7], v[10:11], v[2:3]
	v_mul_f64 v[2:3], v[8:9], v[2:3]
	v_fma_f64 v[6:7], v[8:9], v[0:1], v[6:7]
	v_fma_f64 v[2:3], v[0:1], v[10:11], -v[2:3]
	v_mul_f64 v[0:1], v[6:7], s[0:1]
	v_mul_f64 v[2:3], v[2:3], s[0:1]
	global_store_dwordx4 v[16:17], v[0:3], off
	global_load_dwordx4 v[0:3], v[4:5], off offset:768
	ds_read_b128 v[4:7], v255 offset:19200
	ds_read_b128 v[8:11], v255 offset:20800
	s_waitcnt vmcnt(0) lgkmcnt(1)
	v_mul_f64 v[18:19], v[6:7], v[2:3]
	v_mul_f64 v[2:3], v[4:5], v[2:3]
	v_fma_f64 v[4:5], v[4:5], v[0:1], v[18:19]
	v_fma_f64 v[2:3], v[0:1], v[6:7], -v[2:3]
	v_mul_f64 v[0:1], v[4:5], s[0:1]
	v_mul_f64 v[2:3], v[2:3], s[0:1]
	v_add_co_u32 v4, vcc_lo, v16, s3
	v_add_co_ci_u32_e32 v5, vcc_lo, s2, v17, vcc_lo
	v_add_co_u32 v6, vcc_lo, 0x5000, v22
	v_add_co_ci_u32_e32 v7, vcc_lo, 0, v23, vcc_lo
	global_store_dwordx4 v[4:5], v[0:3], off
	global_load_dwordx4 v[0:3], v[6:7], off offset:320
	s_waitcnt vmcnt(0) lgkmcnt(0)
	v_mul_f64 v[16:17], v[10:11], v[2:3]
	v_mul_f64 v[2:3], v[8:9], v[2:3]
	v_fma_f64 v[8:9], v[8:9], v[0:1], v[16:17]
	v_fma_f64 v[2:3], v[0:1], v[10:11], -v[2:3]
	v_add_co_u32 v16, vcc_lo, v4, s3
	v_add_co_ci_u32_e32 v17, vcc_lo, s2, v5, vcc_lo
	v_mul_f64 v[0:1], v[8:9], s[0:1]
	v_mul_f64 v[2:3], v[2:3], s[0:1]
	global_store_dwordx4 v[16:17], v[0:3], off
	global_load_dwordx4 v[0:3], v[6:7], off offset:1920
	ds_read_b128 v[4:7], v255 offset:22400
	ds_read_b128 v[8:11], v255 offset:24000
	s_waitcnt vmcnt(0) lgkmcnt(1)
	v_mul_f64 v[18:19], v[6:7], v[2:3]
	v_mul_f64 v[2:3], v[4:5], v[2:3]
	v_fma_f64 v[4:5], v[4:5], v[0:1], v[18:19]
	v_fma_f64 v[2:3], v[0:1], v[6:7], -v[2:3]
	v_mul_f64 v[0:1], v[4:5], s[0:1]
	v_mul_f64 v[2:3], v[2:3], s[0:1]
	v_add_co_u32 v4, vcc_lo, v16, s3
	v_add_co_ci_u32_e32 v5, vcc_lo, s2, v17, vcc_lo
	v_add_co_u32 v6, vcc_lo, 0x5800, v22
	v_add_co_ci_u32_e32 v7, vcc_lo, 0, v23, vcc_lo
	global_store_dwordx4 v[4:5], v[0:3], off
	global_load_dwordx4 v[0:3], v[6:7], off offset:1472
	v_add_co_u32 v4, vcc_lo, v4, s3
	v_add_co_ci_u32_e32 v5, vcc_lo, s2, v5, vcc_lo
	s_waitcnt vmcnt(0) lgkmcnt(0)
	v_mul_f64 v[6:7], v[10:11], v[2:3]
	v_mul_f64 v[2:3], v[8:9], v[2:3]
	v_fma_f64 v[6:7], v[8:9], v[0:1], v[6:7]
	v_fma_f64 v[2:3], v[0:1], v[10:11], -v[2:3]
	v_mul_f64 v[0:1], v[6:7], s[0:1]
	v_mul_f64 v[2:3], v[2:3], s[0:1]
	v_add_co_u32 v6, vcc_lo, 0x6000, v22
	v_add_co_ci_u32_e32 v7, vcc_lo, 0, v23, vcc_lo
	global_store_dwordx4 v[4:5], v[0:3], off
	global_load_dwordx4 v[0:3], v[6:7], off offset:1024
	v_add_co_u32 v4, vcc_lo, v4, s3
	v_add_co_ci_u32_e32 v5, vcc_lo, s2, v5, vcc_lo
	s_waitcnt vmcnt(0)
	v_mul_f64 v[6:7], v[14:15], v[2:3]
	v_mul_f64 v[2:3], v[12:13], v[2:3]
	v_fma_f64 v[6:7], v[12:13], v[0:1], v[6:7]
	v_fma_f64 v[2:3], v[0:1], v[14:15], -v[2:3]
	v_mul_f64 v[0:1], v[6:7], s[0:1]
	v_mul_f64 v[2:3], v[2:3], s[0:1]
	global_store_dwordx4 v[4:5], v[0:3], off
.LBB0_15:
	s_endpgm
	.section	.rodata,"a",@progbits
	.p2align	6, 0x0
	.amdhsa_kernel bluestein_single_back_len1700_dim1_dp_op_CI_CI
		.amdhsa_group_segment_fixed_size 27200
		.amdhsa_private_segment_fixed_size 548
		.amdhsa_kernarg_size 104
		.amdhsa_user_sgpr_count 6
		.amdhsa_user_sgpr_private_segment_buffer 1
		.amdhsa_user_sgpr_dispatch_ptr 0
		.amdhsa_user_sgpr_queue_ptr 0
		.amdhsa_user_sgpr_kernarg_segment_ptr 1
		.amdhsa_user_sgpr_dispatch_id 0
		.amdhsa_user_sgpr_flat_scratch_init 0
		.amdhsa_user_sgpr_private_segment_size 0
		.amdhsa_wavefront_size32 1
		.amdhsa_uses_dynamic_stack 0
		.amdhsa_system_sgpr_private_segment_wavefront_offset 1
		.amdhsa_system_sgpr_workgroup_id_x 1
		.amdhsa_system_sgpr_workgroup_id_y 0
		.amdhsa_system_sgpr_workgroup_id_z 0
		.amdhsa_system_sgpr_workgroup_info 0
		.amdhsa_system_vgpr_workitem_id 0
		.amdhsa_next_free_vgpr 256
		.amdhsa_next_free_sgpr 64
		.amdhsa_reserve_vcc 1
		.amdhsa_reserve_flat_scratch 0
		.amdhsa_float_round_mode_32 0
		.amdhsa_float_round_mode_16_64 0
		.amdhsa_float_denorm_mode_32 3
		.amdhsa_float_denorm_mode_16_64 3
		.amdhsa_dx10_clamp 1
		.amdhsa_ieee_mode 1
		.amdhsa_fp16_overflow 0
		.amdhsa_workgroup_processor_mode 1
		.amdhsa_memory_ordered 1
		.amdhsa_forward_progress 0
		.amdhsa_shared_vgpr_count 0
		.amdhsa_exception_fp_ieee_invalid_op 0
		.amdhsa_exception_fp_denorm_src 0
		.amdhsa_exception_fp_ieee_div_zero 0
		.amdhsa_exception_fp_ieee_overflow 0
		.amdhsa_exception_fp_ieee_underflow 0
		.amdhsa_exception_fp_ieee_inexact 0
		.amdhsa_exception_int_div_zero 0
	.end_amdhsa_kernel
	.text
.Lfunc_end0:
	.size	bluestein_single_back_len1700_dim1_dp_op_CI_CI, .Lfunc_end0-bluestein_single_back_len1700_dim1_dp_op_CI_CI
                                        ; -- End function
	.section	.AMDGPU.csdata,"",@progbits
; Kernel info:
; codeLenInByte = 28632
; NumSgprs: 66
; NumVgprs: 256
; ScratchSize: 548
; MemoryBound: 0
; FloatMode: 240
; IeeeMode: 1
; LDSByteSize: 27200 bytes/workgroup (compile time only)
; SGPRBlocks: 8
; VGPRBlocks: 31
; NumSGPRsForWavesPerEU: 66
; NumVGPRsForWavesPerEU: 256
; Occupancy: 4
; WaveLimiterHint : 1
; COMPUTE_PGM_RSRC2:SCRATCH_EN: 1
; COMPUTE_PGM_RSRC2:USER_SGPR: 6
; COMPUTE_PGM_RSRC2:TRAP_HANDLER: 0
; COMPUTE_PGM_RSRC2:TGID_X_EN: 1
; COMPUTE_PGM_RSRC2:TGID_Y_EN: 0
; COMPUTE_PGM_RSRC2:TGID_Z_EN: 0
; COMPUTE_PGM_RSRC2:TIDIG_COMP_CNT: 0
	.text
	.p2alignl 6, 3214868480
	.fill 48, 4, 3214868480
	.type	__hip_cuid_5b769e143d3068c5,@object ; @__hip_cuid_5b769e143d3068c5
	.section	.bss,"aw",@nobits
	.globl	__hip_cuid_5b769e143d3068c5
__hip_cuid_5b769e143d3068c5:
	.byte	0                               ; 0x0
	.size	__hip_cuid_5b769e143d3068c5, 1

	.ident	"AMD clang version 19.0.0git (https://github.com/RadeonOpenCompute/llvm-project roc-6.4.0 25133 c7fe45cf4b819c5991fe208aaa96edf142730f1d)"
	.section	".note.GNU-stack","",@progbits
	.addrsig
	.addrsig_sym __hip_cuid_5b769e143d3068c5
	.amdgpu_metadata
---
amdhsa.kernels:
  - .args:
      - .actual_access:  read_only
        .address_space:  global
        .offset:         0
        .size:           8
        .value_kind:     global_buffer
      - .actual_access:  read_only
        .address_space:  global
        .offset:         8
        .size:           8
        .value_kind:     global_buffer
      - .actual_access:  read_only
        .address_space:  global
        .offset:         16
        .size:           8
        .value_kind:     global_buffer
      - .actual_access:  read_only
        .address_space:  global
        .offset:         24
        .size:           8
        .value_kind:     global_buffer
      - .actual_access:  read_only
        .address_space:  global
        .offset:         32
        .size:           8
        .value_kind:     global_buffer
      - .offset:         40
        .size:           8
        .value_kind:     by_value
      - .address_space:  global
        .offset:         48
        .size:           8
        .value_kind:     global_buffer
      - .address_space:  global
        .offset:         56
        .size:           8
        .value_kind:     global_buffer
      - .address_space:  global
        .offset:         64
        .size:           8
        .value_kind:     global_buffer
      - .address_space:  global
        .offset:         72
        .size:           8
        .value_kind:     global_buffer
      - .offset:         80
        .size:           4
        .value_kind:     by_value
      - .address_space:  global
        .offset:         88
        .size:           8
        .value_kind:     global_buffer
      - .address_space:  global
        .offset:         96
        .size:           8
        .value_kind:     global_buffer
    .group_segment_fixed_size: 27200
    .kernarg_segment_align: 8
    .kernarg_segment_size: 104
    .language:       OpenCL C
    .language_version:
      - 2
      - 0
    .max_flat_workgroup_size: 170
    .name:           bluestein_single_back_len1700_dim1_dp_op_CI_CI
    .private_segment_fixed_size: 548
    .sgpr_count:     66
    .sgpr_spill_count: 0
    .symbol:         bluestein_single_back_len1700_dim1_dp_op_CI_CI.kd
    .uniform_work_group_size: 1
    .uses_dynamic_stack: false
    .vgpr_count:     256
    .vgpr_spill_count: 140
    .wavefront_size: 32
    .workgroup_processor_mode: 1
amdhsa.target:   amdgcn-amd-amdhsa--gfx1030
amdhsa.version:
  - 1
  - 2
...

	.end_amdgpu_metadata
